;; amdgpu-corpus repo=ROCm/composable_kernel kind=compiled arch=gfx1030 opt=O3
	.amdgcn_target "amdgcn-amd-amdhsa--gfx1030"
	.amdhsa_code_object_version 6
	.section	.text._ZN2ckL12flush_icacheEv,"axG",@progbits,_ZN2ckL12flush_icacheEv,comdat
	.globl	_ZN2ckL12flush_icacheEv         ; -- Begin function _ZN2ckL12flush_icacheEv
	.p2align	8
	.type	_ZN2ckL12flush_icacheEv,@function
_ZN2ckL12flush_icacheEv:                ; @_ZN2ckL12flush_icacheEv
; %bb.0:
	;;#ASMSTART
	s_icache_inv 
	s_nop 0 
	s_nop 0 
	;; [unrolled: 1-line block ×16, first 2 shown]
	
	;;#ASMEND
	s_endpgm
	.section	.rodata,"a",@progbits
	.p2align	6, 0x0
	.amdhsa_kernel _ZN2ckL12flush_icacheEv
		.amdhsa_group_segment_fixed_size 0
		.amdhsa_private_segment_fixed_size 0
		.amdhsa_kernarg_size 0
		.amdhsa_user_sgpr_count 4
		.amdhsa_user_sgpr_private_segment_buffer 1
		.amdhsa_user_sgpr_dispatch_ptr 0
		.amdhsa_user_sgpr_queue_ptr 0
		.amdhsa_user_sgpr_kernarg_segment_ptr 0
		.amdhsa_user_sgpr_dispatch_id 0
		.amdhsa_user_sgpr_flat_scratch_init 0
		.amdhsa_user_sgpr_private_segment_size 0
		.amdhsa_wavefront_size32 1
		.amdhsa_uses_dynamic_stack 0
		.amdhsa_system_sgpr_private_segment_wavefront_offset 0
		.amdhsa_system_sgpr_workgroup_id_x 1
		.amdhsa_system_sgpr_workgroup_id_y 0
		.amdhsa_system_sgpr_workgroup_id_z 0
		.amdhsa_system_sgpr_workgroup_info 0
		.amdhsa_system_vgpr_workitem_id 0
		.amdhsa_next_free_vgpr 1
		.amdhsa_next_free_sgpr 1
		.amdhsa_reserve_vcc 0
		.amdhsa_reserve_flat_scratch 0
		.amdhsa_float_round_mode_32 0
		.amdhsa_float_round_mode_16_64 0
		.amdhsa_float_denorm_mode_32 3
		.amdhsa_float_denorm_mode_16_64 3
		.amdhsa_dx10_clamp 1
		.amdhsa_ieee_mode 1
		.amdhsa_fp16_overflow 0
		.amdhsa_workgroup_processor_mode 1
		.amdhsa_memory_ordered 1
		.amdhsa_forward_progress 1
		.amdhsa_shared_vgpr_count 0
		.amdhsa_exception_fp_ieee_invalid_op 0
		.amdhsa_exception_fp_denorm_src 0
		.amdhsa_exception_fp_ieee_div_zero 0
		.amdhsa_exception_fp_ieee_overflow 0
		.amdhsa_exception_fp_ieee_underflow 0
		.amdhsa_exception_fp_ieee_inexact 0
		.amdhsa_exception_int_div_zero 0
	.end_amdhsa_kernel
	.section	.text._ZN2ckL12flush_icacheEv,"axG",@progbits,_ZN2ckL12flush_icacheEv,comdat
.Lfunc_end0:
	.size	_ZN2ckL12flush_icacheEv, .Lfunc_end0-_ZN2ckL12flush_icacheEv
                                        ; -- End function
	.set _ZN2ckL12flush_icacheEv.num_vgpr, 0
	.set _ZN2ckL12flush_icacheEv.num_agpr, 0
	.set _ZN2ckL12flush_icacheEv.numbered_sgpr, 0
	.set _ZN2ckL12flush_icacheEv.num_named_barrier, 0
	.set _ZN2ckL12flush_icacheEv.private_seg_size, 0
	.set _ZN2ckL12flush_icacheEv.uses_vcc, 0
	.set _ZN2ckL12flush_icacheEv.uses_flat_scratch, 0
	.set _ZN2ckL12flush_icacheEv.has_dyn_sized_stack, 0
	.set _ZN2ckL12flush_icacheEv.has_recursion, 0
	.set _ZN2ckL12flush_icacheEv.has_indirect_call, 0
	.section	.AMDGPU.csdata,"",@progbits
; Kernel info:
; codeLenInByte = 344
; TotalNumSgprs: 0
; NumVgprs: 0
; ScratchSize: 0
; MemoryBound: 0
; FloatMode: 240
; IeeeMode: 1
; LDSByteSize: 0 bytes/workgroup (compile time only)
; SGPRBlocks: 0
; VGPRBlocks: 0
; NumSGPRsForWavesPerEU: 1
; NumVGPRsForWavesPerEU: 1
; Occupancy: 16
; WaveLimiterHint : 0
; COMPUTE_PGM_RSRC2:SCRATCH_EN: 0
; COMPUTE_PGM_RSRC2:USER_SGPR: 4
; COMPUTE_PGM_RSRC2:TRAP_HANDLER: 0
; COMPUTE_PGM_RSRC2:TGID_X_EN: 1
; COMPUTE_PGM_RSRC2:TGID_Y_EN: 0
; COMPUTE_PGM_RSRC2:TGID_Z_EN: 0
; COMPUTE_PGM_RSRC2:TIDIG_COMP_CNT: 0
	.section	.text._ZN2ck15kernel_gemm_dppINS_35GridwiseGemm_ak0mak1_bk0nbk1_mn_dppILi128EDF16_fDF16_LNS_25InMemoryDataOperationEnumE0ENS_13tensor_layout4gemm8RowMajorENS4_11ColumnMajorES5_NS_16tensor_operation12element_wise11PassThroughES9_S9_LNS7_6device18GemmSpecializationE4ELi64ELi64ELi64ELi32ELi8ELi8ELi2ELi2ELi2ENS_8SequenceIJLi4ELi32ELi1EEEENSC_IJLi1ELi0ELi2EEEESE_Li2ELi8ELi8ELb0ELb1ESD_SE_SE_Li2ELi2ELi2ELb0ELb1ENSC_IJLi0ELi2ELi4ELi1ELi3ELi5EEEELi5ELi1ELi1ELNS_15PipelineVersionE0EEELb1EEEvNT_8ArgumentE,"axG",@progbits,_ZN2ck15kernel_gemm_dppINS_35GridwiseGemm_ak0mak1_bk0nbk1_mn_dppILi128EDF16_fDF16_LNS_25InMemoryDataOperationEnumE0ENS_13tensor_layout4gemm8RowMajorENS4_11ColumnMajorES5_NS_16tensor_operation12element_wise11PassThroughES9_S9_LNS7_6device18GemmSpecializationE4ELi64ELi64ELi64ELi32ELi8ELi8ELi2ELi2ELi2ENS_8SequenceIJLi4ELi32ELi1EEEENSC_IJLi1ELi0ELi2EEEESE_Li2ELi8ELi8ELb0ELb1ESD_SE_SE_Li2ELi2ELi2ELb0ELb1ENSC_IJLi0ELi2ELi4ELi1ELi3ELi5EEEELi5ELi1ELi1ELNS_15PipelineVersionE0EEELb1EEEvNT_8ArgumentE,comdat
	.protected	_ZN2ck15kernel_gemm_dppINS_35GridwiseGemm_ak0mak1_bk0nbk1_mn_dppILi128EDF16_fDF16_LNS_25InMemoryDataOperationEnumE0ENS_13tensor_layout4gemm8RowMajorENS4_11ColumnMajorES5_NS_16tensor_operation12element_wise11PassThroughES9_S9_LNS7_6device18GemmSpecializationE4ELi64ELi64ELi64ELi32ELi8ELi8ELi2ELi2ELi2ENS_8SequenceIJLi4ELi32ELi1EEEENSC_IJLi1ELi0ELi2EEEESE_Li2ELi8ELi8ELb0ELb1ESD_SE_SE_Li2ELi2ELi2ELb0ELb1ENSC_IJLi0ELi2ELi4ELi1ELi3ELi5EEEELi5ELi1ELi1ELNS_15PipelineVersionE0EEELb1EEEvNT_8ArgumentE ; -- Begin function _ZN2ck15kernel_gemm_dppINS_35GridwiseGemm_ak0mak1_bk0nbk1_mn_dppILi128EDF16_fDF16_LNS_25InMemoryDataOperationEnumE0ENS_13tensor_layout4gemm8RowMajorENS4_11ColumnMajorES5_NS_16tensor_operation12element_wise11PassThroughES9_S9_LNS7_6device18GemmSpecializationE4ELi64ELi64ELi64ELi32ELi8ELi8ELi2ELi2ELi2ENS_8SequenceIJLi4ELi32ELi1EEEENSC_IJLi1ELi0ELi2EEEESE_Li2ELi8ELi8ELb0ELb1ESD_SE_SE_Li2ELi2ELi2ELb0ELb1ENSC_IJLi0ELi2ELi4ELi1ELi3ELi5EEEELi5ELi1ELi1ELNS_15PipelineVersionE0EEELb1EEEvNT_8ArgumentE
	.globl	_ZN2ck15kernel_gemm_dppINS_35GridwiseGemm_ak0mak1_bk0nbk1_mn_dppILi128EDF16_fDF16_LNS_25InMemoryDataOperationEnumE0ENS_13tensor_layout4gemm8RowMajorENS4_11ColumnMajorES5_NS_16tensor_operation12element_wise11PassThroughES9_S9_LNS7_6device18GemmSpecializationE4ELi64ELi64ELi64ELi32ELi8ELi8ELi2ELi2ELi2ENS_8SequenceIJLi4ELi32ELi1EEEENSC_IJLi1ELi0ELi2EEEESE_Li2ELi8ELi8ELb0ELb1ESD_SE_SE_Li2ELi2ELi2ELb0ELb1ENSC_IJLi0ELi2ELi4ELi1ELi3ELi5EEEELi5ELi1ELi1ELNS_15PipelineVersionE0EEELb1EEEvNT_8ArgumentE
	.p2align	8
	.type	_ZN2ck15kernel_gemm_dppINS_35GridwiseGemm_ak0mak1_bk0nbk1_mn_dppILi128EDF16_fDF16_LNS_25InMemoryDataOperationEnumE0ENS_13tensor_layout4gemm8RowMajorENS4_11ColumnMajorES5_NS_16tensor_operation12element_wise11PassThroughES9_S9_LNS7_6device18GemmSpecializationE4ELi64ELi64ELi64ELi32ELi8ELi8ELi2ELi2ELi2ENS_8SequenceIJLi4ELi32ELi1EEEENSC_IJLi1ELi0ELi2EEEESE_Li2ELi8ELi8ELb0ELb1ESD_SE_SE_Li2ELi2ELi2ELb0ELb1ENSC_IJLi0ELi2ELi4ELi1ELi3ELi5EEEELi5ELi1ELi1ELNS_15PipelineVersionE0EEELb1EEEvNT_8ArgumentE,@function
_ZN2ck15kernel_gemm_dppINS_35GridwiseGemm_ak0mak1_bk0nbk1_mn_dppILi128EDF16_fDF16_LNS_25InMemoryDataOperationEnumE0ENS_13tensor_layout4gemm8RowMajorENS4_11ColumnMajorES5_NS_16tensor_operation12element_wise11PassThroughES9_S9_LNS7_6device18GemmSpecializationE4ELi64ELi64ELi64ELi32ELi8ELi8ELi2ELi2ELi2ENS_8SequenceIJLi4ELi32ELi1EEEENSC_IJLi1ELi0ELi2EEEESE_Li2ELi8ELi8ELb0ELb1ESD_SE_SE_Li2ELi2ELi2ELb0ELb1ENSC_IJLi0ELi2ELi4ELi1ELi3ELi5EEEELi5ELi1ELi1ELNS_15PipelineVersionE0EEELb1EEEvNT_8ArgumentE: ; @_ZN2ck15kernel_gemm_dppINS_35GridwiseGemm_ak0mak1_bk0nbk1_mn_dppILi128EDF16_fDF16_LNS_25InMemoryDataOperationEnumE0ENS_13tensor_layout4gemm8RowMajorENS4_11ColumnMajorES5_NS_16tensor_operation12element_wise11PassThroughES9_S9_LNS7_6device18GemmSpecializationE4ELi64ELi64ELi64ELi32ELi8ELi8ELi2ELi2ELi2ENS_8SequenceIJLi4ELi32ELi1EEEENSC_IJLi1ELi0ELi2EEEESE_Li2ELi8ELi8ELb0ELb1ESD_SE_SE_Li2ELi2ELi2ELb0ELb1ENSC_IJLi0ELi2ELi4ELi1ELi3ELi5EEEELi5ELi1ELi1ELNS_15PipelineVersionE0EEELb1EEEvNT_8ArgumentE
; %bb.0:
	s_getpc_b64 s[0:1]
	s_add_u32 s0, s0, _ZN2ck35GridwiseGemm_ak0mak1_bk0nbk1_mn_dppILi128EDF16_fDF16_LNS_25InMemoryDataOperationEnumE0ENS_13tensor_layout4gemm8RowMajorENS3_11ColumnMajorES4_NS_16tensor_operation12element_wise11PassThroughES8_S8_LNS6_6device18GemmSpecializationE4ELi64ELi64ELi64ELi32ELi8ELi8ELi2ELi2ELi2ENS_8SequenceIJLi4ELi32ELi1EEEENSB_IJLi1ELi0ELi2EEEESD_Li2ELi8ELi8ELb0ELb1ESC_SD_SD_Li2ELi2ELi2ELb0ELb1ENSB_IJLi0ELi2ELi4ELi1ELi3ELi5EEEELi5ELi1ELi1ELNS_15PipelineVersionE0EE13matrix_padderE@rel32@lo+4
	s_addc_u32 s1, s1, _ZN2ck35GridwiseGemm_ak0mak1_bk0nbk1_mn_dppILi128EDF16_fDF16_LNS_25InMemoryDataOperationEnumE0ENS_13tensor_layout4gemm8RowMajorENS3_11ColumnMajorES4_NS_16tensor_operation12element_wise11PassThroughES8_S8_LNS6_6device18GemmSpecializationE4ELi64ELi64ELi64ELi32ELi8ELi8ELi2ELi2ELi2ENS_8SequenceIJLi4ELi32ELi1EEEENSB_IJLi1ELi0ELi2EEEESD_Li2ELi8ELi8ELb0ELb1ESC_SD_SD_Li2ELi2ELi2ELb0ELb1ENSB_IJLi0ELi2ELi4ELi1ELi3ELi5EEEELi5ELi1ELi1ELNS_15PipelineVersionE0EE13matrix_padderE@rel32@hi+12
	s_clause 0x1
	s_load_dwordx4 s[8:11], s[4:5], 0x10
	s_load_dwordx2 s[24:25], s[4:5], 0x20
	s_load_dwordx2 s[0:1], s[0:1], 0x0
	v_lshlrev_b32_e32 v2, 3, v0
	v_and_b32_e32 v37, 31, v0
	v_lshrrev_b32_e32 v84, 2, v0
	v_and_b32_e32 v38, 7, v0
	v_and_b32_e32 v39, 3, v0
	;; [unrolled: 1-line block ×3, first 2 shown]
	v_mov_b32_e32 v83, 0
	v_and_or_b32 v40, v84, 32, v37
	v_and_or_b32 v37, v84, 24, v38
	v_lshlrev_b32_e32 v38, 5, v39
	v_mul_u32_u24_e32 v42, 0x104, v28
	v_mov_b32_e32 v80, 0
	v_mov_b32_e32 v79, 0
	v_lshlrev_b32_e32 v86, 2, v37
	v_mov_b32_e32 v75, 0
	v_mov_b32_e32 v74, 0
	;; [unrolled: 1-line block ×3, first 2 shown]
	s_waitcnt lgkmcnt(0)
	s_add_i32 s31, s8, -1
	v_mov_b32_e32 v69, 0
	s_abs_i32 s2, s0
	s_add_i32 s0, s8, s0
	v_cvt_f32_u32_e32 v1, s2
	s_sub_i32 s7, 0, s2
	s_add_i32 s0, s0, -1
	v_mov_b32_e32 v65, 0
	s_abs_i32 s13, s0
	v_rcp_iflag_f32_e32 v1, v1
	v_mov_b32_e32 v82, 0
	v_mov_b32_e32 v81, 0
	;; [unrolled: 1-line block ×9, first 2 shown]
	v_mul_f32_e32 v1, 0x4f7ffffe, v1
	v_mov_b32_e32 v55, 0
	v_mov_b32_e32 v56, 0
	;; [unrolled: 1-line block ×4, first 2 shown]
	v_cvt_u32_f32_e32 v1, v1
	v_mov_b32_e32 v62, 0
	v_mov_b32_e32 v64, 0
	;; [unrolled: 1-line block ×4, first 2 shown]
	v_readfirstlane_b32 s3, v1
	v_mov_b32_e32 v54, 0
	v_mov_b32_e32 v57, 0
	;; [unrolled: 1-line block ×4, first 2 shown]
	s_mul_i32 s7, s7, s3
	v_mov_b32_e32 v63, 0
	s_mul_hi_u32 s7, s3, s7
	v_mov_b32_e32 v66, 0
	s_add_i32 s3, s3, s7
	s_mul_i32 s7, s31, s11
	s_mul_hi_u32 s3, s13, s3
	s_add_u32 s12, s7, s10
	s_mul_i32 s3, s3, s2
	s_ashr_i32 s7, s0, 31
	s_sub_i32 s3, s13, s3
	v_mov_b32_e32 v78, 0
	s_sub_i32 s13, s3, s2
	s_cmp_ge_u32 s3, s2
	v_lshlrev_b32_e32 v85, 4, v40
	s_cselect_b32 s3, s13, s3
	v_add_nc_u32_e32 v40, 0x2000, v86
	s_sub_i32 s13, s3, s2
	s_cmp_ge_u32 s3, s2
	v_add_nc_u32_e32 v43, 0x2c00, v86
	s_cselect_b32 s2, s13, s3
	s_abs_i32 s3, s1
	s_add_i32 s1, s9, s1
	v_cvt_f32_u32_e32 v1, s3
	s_sub_i32 s15, 0, s3
	s_add_i32 s1, s1, -1
	s_xor_b32 s2, s2, s7
	s_abs_i32 s16, s1
	v_rcp_iflag_f32_e32 v1, v1
	s_sub_i32 s2, s7, s2
	s_add_i32 s13, s9, -1
	s_add_i32 s0, s0, s2
	s_mul_i32 s13, s13, s24
	v_add_nc_u32_e32 v44, 0x3000, v86
	v_add_nc_u32_e32 v45, 0x3400, v86
	;; [unrolled: 1-line block ×5, first 2 shown]
	v_mul_f32_e32 v1, 0x4f7ffffe, v1
	v_add_nc_u32_e32 v49, 0x2a00, v86
	v_add_nc_u32_e32 v50, 0x2e00, v86
	;; [unrolled: 1-line block ×4, first 2 shown]
	v_cvt_u32_f32_e32 v1, v1
	v_add_nc_u32_e32 v88, 0x3a00, v86
	v_add_nc_u32_e32 v89, 0x3e00, v86
	v_readfirstlane_b32 s14, v1
	s_mul_i32 s15, s15, s14
	s_mul_hi_u32 s15, s14, s15
	s_add_i32 s14, s14, s15
	s_mul_hi_u32 s7, s16, s14
	s_add_u32 s14, s13, s10
	s_mul_i32 s7, s7, s3
	s_ashr_i32 s10, s1, 31
	s_sub_i32 s7, s16, s7
	s_sub_i32 s2, s7, s3
	s_cmp_ge_u32 s7, s3
	s_cselect_b32 s2, s2, s7
	s_sub_i32 s7, s2, s3
	s_cmp_ge_u32 s2, s3
	s_cselect_b32 s2, s7, s2
	s_add_i32 s0, s0, 63
	s_xor_b32 s2, s2, s10
	s_abs_i32 s7, s6
	s_sub_i32 s2, s10, s2
	s_add_i32 s1, s1, s2
	s_ashr_i32 s2, s0, 31
	s_add_i32 s1, s1, 63
	s_lshr_b32 s2, s2, 26
	s_ashr_i32 s3, s1, 31
	s_add_i32 s0, s0, s2
	s_lshr_b32 s3, s3, 26
	s_ashr_i32 s0, s0, 6
	s_add_i32 s1, s1, s3
	s_ashr_i32 s10, s1, 6
	s_mul_i32 s1, s10, s0
	s_abs_i32 s1, s1
	v_cvt_f32_u32_e32 v1, s1
	s_sub_i32 s3, 0, s1
	v_rcp_iflag_f32_e32 v1, v1
	v_mul_f32_e32 v1, 0x4f7ffffe, v1
	v_cvt_u32_f32_e32 v1, v1
	v_readfirstlane_b32 s2, v1
	s_mul_i32 s3, s3, s2
	s_mul_hi_u32 s3, s2, s3
	s_add_i32 s2, s2, s3
	s_getpc_b64 s[26:27]
	s_add_u32 s26, s26, _ZN2ck45BlockwiseGemmDpp_ak0mak1_bk0nbk1_m0n0m1n1m2n2ILi128EDF16_fKNS_16TensorDescriptorINS_5TupleIJNS_5EmbedINS2_IJNS_17integral_constantIiLi8EEENS4_IiLi64EEES5_EEENS2_IJNS4_IiLi520EEES5_NS4_IiLi1EEEEEELb0EEEEEENS2_IJNS_8SequenceIJLi0EEEEEEENS2_IJNSD_IJLi1ELi2ELi3EEEEEEESG_NS4_IlLl4152EEEEEKNS1_INS2_IJNS3_INS2_IJNS4_IiLi32EEES6_NS4_IiLi2EEEEEENS2_IJNS4_IiLi130EEESM_S9_EEELb0EEEEEESF_SH_SG_NS4_IlLl4158EEEEELi32ELi8ELi2ELi2ELi8EE6MWavesE@rel32@lo+4
	s_addc_u32 s27, s27, _ZN2ck45BlockwiseGemmDpp_ak0mak1_bk0nbk1_m0n0m1n1m2n2ILi128EDF16_fKNS_16TensorDescriptorINS_5TupleIJNS_5EmbedINS2_IJNS_17integral_constantIiLi8EEENS4_IiLi64EEES5_EEENS2_IJNS4_IiLi520EEES5_NS4_IiLi1EEEEEELb0EEEEEENS2_IJNS_8SequenceIJLi0EEEEEEENS2_IJNSD_IJLi1ELi2ELi3EEEEEEESG_NS4_IlLl4152EEEEEKNS1_INS2_IJNS3_INS2_IJNS4_IiLi32EEES6_NS4_IiLi2EEEEEENS2_IJNS4_IiLi130EEESM_S9_EEELb0EEEEEESF_SH_SG_NS4_IlLl4158EEEEELi32ELi8ELi2ELi2ELi8EE6MWavesE@rel32@hi+12
	s_mul_hi_u32 s2, s7, s2
	s_getpc_b64 s[28:29]
	s_add_u32 s28, s28, _ZN2ck45BlockwiseGemmDpp_ak0mak1_bk0nbk1_m0n0m1n1m2n2ILi128EDF16_fKNS_16TensorDescriptorINS_5TupleIJNS_5EmbedINS2_IJNS_17integral_constantIiLi8EEENS4_IiLi64EEES5_EEENS2_IJNS4_IiLi520EEES5_NS4_IiLi1EEEEEELb0EEEEEENS2_IJNS_8SequenceIJLi0EEEEEEENS2_IJNSD_IJLi1ELi2ELi3EEEEEEESG_NS4_IlLl4152EEEEEKNS1_INS2_IJNS3_INS2_IJNS4_IiLi32EEES6_NS4_IiLi2EEEEEENS2_IJNS4_IiLi130EEESM_S9_EEELb0EEEEEESF_SH_SG_NS4_IlLl4158EEEEELi32ELi8ELi2ELi2ELi8EE6NWavesE@rel32@lo+4
	s_addc_u32 s29, s29, _ZN2ck45BlockwiseGemmDpp_ak0mak1_bk0nbk1_m0n0m1n1m2n2ILi128EDF16_fKNS_16TensorDescriptorINS_5TupleIJNS_5EmbedINS2_IJNS_17integral_constantIiLi8EEENS4_IiLi64EEES5_EEENS2_IJNS4_IiLi520EEES5_NS4_IiLi1EEEEEELb0EEEEEENS2_IJNS_8SequenceIJLi0EEEEEEENS2_IJNSD_IJLi1ELi2ELi3EEEEEEESG_NS4_IlLl4152EEEEEKNS1_INS2_IJNS3_INS2_IJNS4_IiLi32EEES6_NS4_IiLi2EEEEEENS2_IJNS4_IiLi130EEESM_S9_EEELb0EEEEEESF_SH_SG_NS4_IlLl4158EEEEELi32ELi8ELi2ELi2ELi8EE6NWavesE@rel32@hi+12
	s_mul_i32 s2, s2, s1
	s_ashr_i32 s3, s6, 31
	s_sub_i32 s2, s7, s2
	s_sub_i32 s6, s2, s1
	s_cmp_ge_u32 s2, s1
	s_cselect_b32 s2, s6, s2
	s_sub_i32 s6, s2, s1
	s_cmp_ge_u32 s2, s1
	s_cselect_b32 s1, s6, s2
	s_abs_i32 s2, s10
	s_xor_b32 s1, s1, s3
	v_cvt_f32_u32_e32 v1, s2
	s_sub_i32 s7, 0, s2
	s_sub_i32 s13, s1, s3
	s_abs_i32 s3, s13
	v_rcp_iflag_f32_e32 v1, v1
	v_mul_f32_e32 v1, 0x4f7ffffe, v1
	v_cvt_u32_f32_e32 v1, v1
	v_readfirstlane_b32 s6, v1
	s_mul_i32 s7, s7, s6
	s_mul_hi_u32 s1, s6, s7
	s_add_i32 s6, s6, s1
	s_mul_hi_u32 s1, s3, s6
	s_xor_b32 s6, s13, s10
	s_mul_i32 s7, s1, s2
	s_ashr_i32 s6, s6, 31
	s_sub_i32 s3, s3, s7
	s_add_i32 s7, s1, 1
	s_sub_i32 s15, s3, s2
	s_cmp_ge_u32 s3, s2
	s_cselect_b32 s1, s7, s1
	s_cselect_b32 s3, s15, s3
	s_add_i32 s7, s1, 1
	s_cmp_ge_u32 s3, s2
	s_cselect_b32 s1, s7, s1
	s_lshr_b32 s2, s0, 29
	s_xor_b32 s1, s1, s6
	s_add_i32 s2, s0, s2
	s_sub_i32 s15, s1, s6
	s_and_b32 s2, s2, -8
	s_mul_i32 s18, s15, s10
	s_sub_i32 s0, s0, s2
	s_cmp_ge_i32 s15, s2
	s_mov_b32 s7, 0x31014000
	s_cselect_b32 s6, s0, 8
	s_ashr_i32 s0, s15, 31
	s_abs_i32 s16, s6
	s_lshr_b32 s17, s0, 29
	v_cvt_f32_u32_e32 v1, s16
	s_add_i32 s17, s15, s17
	s_sub_i32 s13, s13, s18
	s_and_b32 s17, s17, -8
	s_sub_i32 s18, 0, s16
	v_rcp_iflag_f32_e32 v1, v1
	s_sub_i32 s15, s15, s17
	s_load_dwordx4 s[0:3], s[4:5], 0x38
	s_mul_i32 s10, s15, s10
	s_mov_b32 s23, s7
	s_add_i32 s15, s10, s13
	s_abs_i32 s13, s15
	v_mul_f32_e32 v1, 0x4f7ffffe, v1
	v_cvt_u32_f32_e32 v1, v1
	v_readfirstlane_b32 s19, v1
	v_lshrrev_b32_e32 v1, 1, v0
	s_mul_i32 s18, s18, s19
	v_and_b32_e32 v24, 0x7e, v1
	s_mul_hi_u32 s10, s19, s18
	s_xor_b32 s18, s15, s6
	s_add_i32 s10, s19, s10
	s_ashr_i32 s18, s18, 31
	s_mul_hi_u32 s10, s13, s10
	v_lshlrev_b32_e32 v1, 1, v0
	s_mul_i32 s20, s10, s16
	s_mov_b32 s19, s7
	s_sub_i32 s13, s13, s20
	s_add_i32 s20, s10, 1
	s_sub_i32 s21, s13, s16
	s_cmp_ge_u32 s13, s16
	v_and_b32_e32 v26, 6, v1
	s_cselect_b32 s10, s20, s10
	s_cselect_b32 s13, s21, s13
	s_add_i32 s20, s10, 1
	s_cmp_ge_u32 s13, s16
	s_load_dword s13, s[4:5], 0x30
	s_cselect_b32 s10, s20, s10
	s_lshl_b32 s14, s14, 1
	s_xor_b32 s10, s10, s18
	s_waitcnt lgkmcnt(0)
	s_mov_b32 s20, s2
	s_sub_i32 s16, s10, s18
	s_and_b32 s21, s3, 0xffff
	s_lshl_b32 s10, s16, 6
	s_mul_i32 s16, s16, s6
	v_add_nc_u32_e32 v25, s10, v24
	s_sub_i32 s6, s15, s16
	s_mov_b32 s16, s0
	s_add_i32 s17, s17, s6
	s_lshl_b32 s6, s12, 1
	v_mul_lo_u32 v27, v25, s24
	s_lshl_b32 s30, s17, 6
	s_and_b32 s17, s1, 0xffff
	v_add_nc_u32_e32 v29, s30, v24
	s_mov_b32 s18, s6
	s_mov_b32 s22, s14
	v_lshlrev_b32_e32 v39, 4, v24
	v_lshlrev_b32_e32 v24, 2, v24
	v_mul_lo_u32 v30, v29, s11
	v_lshl_add_u32 v1, v28, 1, v27
	s_load_dword s3, s[26:27], 0x0
	v_mul_u32_u24_e32 v41, 0x410, v26
	v_mad_u32_u24 v102, 0x410, v26, v39
	v_cmp_gt_i32_e32 vcc_lo, s9, v25
	v_add_nc_u32_e32 v5, 14, v1
	v_lshlrev_b32_e32 v6, 1, v1
	v_lshl_add_u32 v13, v26, 3, v30
	v_add_lshl_u32 v7, v1, s24, 1
	s_clause 0x2
	buffer_load_dwordx4 v[1:4], v6, s[20:23], 0 offen
	buffer_load_dwordx3 v[21:23], v6, s[20:23], 0 offen offset:16
	buffer_load_dword v31, v7, s[20:23], 0 offen
	v_add_lshl_u32 v8, v5, s24, 1
	v_add_nc_u32_e32 v10, 8, v13
	v_lshlrev_b32_e32 v9, 1, v5
	v_lshlrev_b32_e32 v5, 1, v13
	v_mad_u32_u24 v26, 0x104, v28, v24
	v_add_nc_u32_e32 v11, -4, v8
	v_add_nc_u32_e32 v12, -12, v8
	v_subrev_nc_u32_e32 v14, 20, v8
	v_lshlrev_b32_e32 v18, 1, v10
	v_subrev_nc_u32_e32 v17, 24, v8
	buffer_load_dword v32, v8, s[20:23], 0 offen
	v_add_nc_u32_e32 v15, -8, v8
	v_add_nc_u32_e32 v16, -16, v8
	buffer_load_dwordx4 v[5:8], v5, s[16:19], 0 offen
	s_clause 0x6
	buffer_load_dword v33, v11, s[20:23], 0 offen
	buffer_load_dword v34, v12, s[20:23], 0 offen
	;; [unrolled: 1-line block ×7, first 2 shown]
	v_add_lshl_u32 v14, v10, s11, 1
	v_add_lshl_u32 v17, v13, s11, 1
	s_clause 0x2
	buffer_load_dwordx4 v[9:12], v18, s[16:19], 0 offen
	buffer_load_dwordx4 v[13:16], v14, s[16:19], 0 offen
	;; [unrolled: 1-line block ×3, first 2 shown]
	s_load_dwordx2 s[18:19], s[4:5], 0x48
	s_load_dword s16, s[28:29], 0x0
	v_add_nc_u32_e32 v24, v42, v24
	s_mov_b32 s4, s0
	s_ashr_i32 s0, s13, 31
	v_add_nc_u32_e32 v103, 0x2000, v26
	s_lshr_b32 s0, s0, 29
	v_add_nc_u32_e32 v104, 0x278c, v26
	v_add_nc_u32_e32 v105, 0x2584, v26
	;; [unrolled: 1-line block ×4, first 2 shown]
	v_or_b32_e32 v26, 1, v29
	s_add_i32 s13, s13, s0
	v_add_nc_u32_e32 v90, 0x2174, v24
	v_add_nc_u32_e32 v91, 0x237c, v24
	;; [unrolled: 1-line block ×5, first 2 shown]
	v_or_b32_e32 v24, 1, v25
	s_ashr_i32 s0, s13, 3
	v_add_nc_u32_e32 v28, s11, v30
	v_cmp_gt_i32_e64 s1, s8, v29
	s_mov_b32 s12, s2
	s_max_i32 s0, s0, 2
	v_cmp_gt_i32_e64 s2, s8, v26
	s_mov_b32 s5, s17
	s_add_i32 s17, s0, -1
	v_cmp_gt_i32_e64 s0, s9, v24
	v_add_nc_u32_e32 v39, v41, v39
	v_add_nc_u32_e32 v41, 0x2400, v86
	;; [unrolled: 1-line block ×3, first 2 shown]
	v_add_lshl_u32 v95, v27, s24, 1
	v_lshlrev_b32_e32 v96, 1, v27
	v_lshl_add_u32 v97, v30, 1, 0x90
	v_lshl_add_u32 v98, v28, 1, 0x90
	s_mov_b32 s15, s7
	s_mov_b32 s13, s21
	s_waitcnt vmcnt(14)
	v_cndmask_b32_e32 v24, 0, v1, vcc_lo
	s_waitcnt vmcnt(13)
	v_cndmask_b32_e32 v26, 0, v23, vcc_lo
	v_cndmask_b32_e32 v28, 0, v3, vcc_lo
	;; [unrolled: 1-line block ×6, first 2 shown]
	s_waitcnt vmcnt(12)
	v_cndmask_b32_e64 v25, 0, v31, s0
	s_waitcnt vmcnt(10)
	v_cndmask_b32_e64 v4, 0, v8, s1
	v_cndmask_b32_e64 v3, 0, v7, s1
	;; [unrolled: 1-line block ×4, first 2 shown]
	s_waitcnt vmcnt(9)
	v_cndmask_b32_e64 v27, 0, v33, s0
	s_waitcnt vmcnt(8)
	v_cndmask_b32_e64 v22, 0, v34, s0
	v_cndmask_b32_e64 v32, 0, v32, s0
	s_waitcnt vmcnt(7)
	v_cndmask_b32_e64 v29, 0, v35, s0
	s_waitcnt vmcnt(3)
	v_cndmask_b32_e32 v31, 0, v101, vcc_lo
	v_cndmask_b32_e64 v33, 0, v100, s0
	s_waitcnt vmcnt(2)
	v_cndmask_b32_e64 v8, 0, v12, s1
	v_cndmask_b32_e64 v7, 0, v11, s1
	v_cndmask_b32_e64 v6, 0, v10, s1
	v_cndmask_b32_e64 v5, 0, v9, s1
	s_waitcnt vmcnt(1)
	v_cndmask_b32_e64 v12, 0, v16, s2
	v_cndmask_b32_e64 v11, 0, v15, s2
	v_cndmask_b32_e64 v10, 0, v14, s2
	;; [unrolled: 5-line block ×3, first 2 shown]
	v_cndmask_b32_e64 v13, 0, v17, s2
	v_cndmask_b32_e64 v34, 0, v99, s0
	;; [unrolled: 1-line block ×3, first 2 shown]
	ds_write_b128 v102, v[1:4]
	ds_write_b128 v102, v[5:8] offset:1040
	ds_write_b128 v102, v[9:12] offset:1056
	;; [unrolled: 1-line block ×3, first 2 shown]
	ds_write2_b64 v103, v[21:22], v[26:27] offset0:144 offset1:209
	ds_write2_b64 v103, v[24:25], v[28:29] offset0:14 offset1:79
	ds_write2_b32 v104, v31, v32 offset1:1
	ds_write2_b32 v105, v108, v33 offset1:1
	;; [unrolled: 1-line block ×4, first 2 shown]
.LBB1_1:                                ; =>This Inner Loop Header: Depth=1
	v_add_nc_u32_e32 v1, v38, v97
	v_add_nc_u32_e32 v2, v38, v98
	v_add_nc_u32_e32 v9, v38, v96
	v_add_nc_u32_e32 v21, v38, v95
	v_add_nc_u32_e32 v95, 0x80, v95
	v_add_nc_u32_e32 v3, -16, v1
	v_add_nc_u32_e32 v4, -16, v2
	v_add_nc_u32_e32 v96, 0x80, v96
	s_clause 0x3
	buffer_load_dwordx4 v[29:32], v2, s[4:7], 0 offen
	buffer_load_dwordx4 v[13:16], v1, s[4:7], 0 offen
	;; [unrolled: 1-line block ×4, first 2 shown]
	s_waitcnt lgkmcnt(0)
	s_barrier
	ds_read2_b32 v[127:128], v40 offset0:28 offset1:93
	ds_read2_b32 v[129:130], v40 offset0:158 offset1:223
	;; [unrolled: 1-line block ×8, first 2 shown]
	ds_read_b128 v[99:102], v85
	ds_read2_b32 v[143:144], v44 offset0:44 offset1:109
	ds_read2_b32 v[145:146], v44 offset0:174 offset1:239
	;; [unrolled: 1-line block ×8, first 2 shown]
	s_clause 0x3
	buffer_load_dwordx4 v[25:28], v9, s[12:15], 0 offen offset:128
	buffer_load_dwordx4 v[17:20], v9, s[12:15], 0 offen offset:144
	;; [unrolled: 1-line block ×4, first 2 shown]
	ds_read_b128 v[103:106], v85 offset:1040
	ds_read_b128 v[107:110], v85 offset:2080
	;; [unrolled: 1-line block ×7, first 2 shown]
	v_add_nc_u32_e32 v98, 0x80, v98
	v_add_nc_u32_e32 v97, 0x80, v97
	s_add_i32 s17, s17, -1
	s_waitcnt lgkmcnt(15)
	;;#ASMSTART
	
 v_dot2c_f32_f16_dpp v83, v99, v127 dpp8:[0, 0, 0, 0, 0, 0, 0, 0]
	;;#ASMEND
	;;#ASMSTART
	
 v_dot2c_f32_f16_dpp v80, v99, v127 dpp8:[1, 1, 1, 1, 1, 1, 1, 1]
	;;#ASMEND
	;; [unrolled: 4-line block ×32, first 2 shown]
	s_waitcnt lgkmcnt(6)
	;;#ASMSTART
	
 v_dot2c_f32_f16_dpp v83, v103, v131 dpp8:[0, 0, 0, 0, 0, 0, 0, 0]
	;;#ASMEND
	;;#ASMSTART
	
 v_dot2c_f32_f16_dpp v80, v103, v131 dpp8:[1, 1, 1, 1, 1, 1, 1, 1]
	;;#ASMEND
	;; [unrolled: 4-line block ×32, first 2 shown]
	s_waitcnt lgkmcnt(5)
	;;#ASMSTART
	
 v_dot2c_f32_f16_dpp v83, v107, v135 dpp8:[0, 0, 0, 0, 0, 0, 0, 0]
	;;#ASMEND
	;;#ASMSTART
	
 v_dot2c_f32_f16_dpp v80, v107, v135 dpp8:[1, 1, 1, 1, 1, 1, 1, 1]
	;;#ASMEND
	;; [unrolled: 4-line block ×32, first 2 shown]
	s_waitcnt lgkmcnt(4)
	;;#ASMSTART
	
 v_dot2c_f32_f16_dpp v83, v111, v139 dpp8:[0, 0, 0, 0, 0, 0, 0, 0]
	;;#ASMEND
	;;#ASMSTART
	
 v_dot2c_f32_f16_dpp v80, v111, v139 dpp8:[1, 1, 1, 1, 1, 1, 1, 1]
	;;#ASMEND
	;; [unrolled: 4-line block ×32, first 2 shown]
	s_waitcnt lgkmcnt(3)
	;;#ASMSTART
	
 v_dot2c_f32_f16_dpp v83, v115, v143 dpp8:[0, 0, 0, 0, 0, 0, 0, 0]
	;;#ASMEND
	;;#ASMSTART
	
 v_dot2c_f32_f16_dpp v80, v115, v143 dpp8:[1, 1, 1, 1, 1, 1, 1, 1]
	;;#ASMEND
	;; [unrolled: 4-line block ×32, first 2 shown]
	s_waitcnt lgkmcnt(2)
	;;#ASMSTART
	
 v_dot2c_f32_f16_dpp v83, v119, v147 dpp8:[0, 0, 0, 0, 0, 0, 0, 0]
	;;#ASMEND
	;;#ASMSTART
	
 v_dot2c_f32_f16_dpp v80, v119, v147 dpp8:[1, 1, 1, 1, 1, 1, 1, 1]
	;;#ASMEND
	;; [unrolled: 4-line block ×32, first 2 shown]
	s_waitcnt lgkmcnt(1)
	;;#ASMSTART
	
 v_dot2c_f32_f16_dpp v83, v123, v151 dpp8:[0, 0, 0, 0, 0, 0, 0, 0]
	;;#ASMEND
	;;#ASMSTART
	
 v_dot2c_f32_f16_dpp v80, v123, v151 dpp8:[1, 1, 1, 1, 1, 1, 1, 1]
	;;#ASMEND
	;; [unrolled: 4-line block ×32, first 2 shown]
	s_waitcnt lgkmcnt(0)
	;;#ASMSTART
	
 v_dot2c_f32_f16_dpp v83, v33, v155 dpp8:[0, 0, 0, 0, 0, 0, 0, 0]
	;;#ASMEND
	;;#ASMSTART
	
 v_dot2c_f32_f16_dpp v80, v33, v155 dpp8:[1, 1, 1, 1, 1, 1, 1, 1]
	;;#ASMEND
	;; [unrolled: 4-line block ×32, first 2 shown]
	ds_read2_b32 v[127:128], v40 offset0:60 offset1:125
	ds_read2_b32 v[129:130], v40 offset0:190 offset1:255
	;; [unrolled: 1-line block ×16, first 2 shown]
	s_waitcnt lgkmcnt(15)
	;;#ASMSTART
	
 v_dot2c_f32_f16_dpp v82, v99, v127 dpp8:[0, 0, 0, 0, 0, 0, 0, 0]
	;;#ASMEND
	;;#ASMSTART
	
 v_dot2c_f32_f16_dpp v81, v99, v127 dpp8:[1, 1, 1, 1, 1, 1, 1, 1]
	;;#ASMEND
	;;#ASMSTART
	
 v_dot2c_f32_f16_dpp v77, v99, v127 dpp8:[2, 2, 2, 2, 2, 2, 2, 2]
	;;#ASMEND
	;;#ASMSTART
	
 v_dot2c_f32_f16_dpp v76, v99, v127 dpp8:[3, 3, 3, 3, 3, 3, 3, 3]
	;;#ASMEND
	;;#ASMSTART
	
 v_dot2c_f32_f16_dpp v72, v99, v127 dpp8:[4, 4, 4, 4, 4, 4, 4, 4]
	;;#ASMEND
	;;#ASMSTART
	
 v_dot2c_f32_f16_dpp v73, v99, v127 dpp8:[5, 5, 5, 5, 5, 5, 5, 5]
	;;#ASMEND
	;;#ASMSTART
	
 v_dot2c_f32_f16_dpp v68, v99, v127 dpp8:[6, 6, 6, 6, 6, 6, 6, 6]
	;;#ASMEND
	;;#ASMSTART
	
 v_dot2c_f32_f16_dpp v70, v99, v127 dpp8:[7, 7, 7, 7, 7, 7, 7, 7]
	;;#ASMEND
	;;#ASMSTART
	
 v_dot2c_f32_f16_dpp v82, v100, v128 dpp8:[0, 0, 0, 0, 0, 0, 0, 0]
	;;#ASMEND
	;;#ASMSTART
	
 v_dot2c_f32_f16_dpp v81, v100, v128 dpp8:[1, 1, 1, 1, 1, 1, 1, 1]
	;;#ASMEND
	;;#ASMSTART
	
 v_dot2c_f32_f16_dpp v77, v100, v128 dpp8:[2, 2, 2, 2, 2, 2, 2, 2]
	;;#ASMEND
	;;#ASMSTART
	
 v_dot2c_f32_f16_dpp v76, v100, v128 dpp8:[3, 3, 3, 3, 3, 3, 3, 3]
	;;#ASMEND
	;;#ASMSTART
	
 v_dot2c_f32_f16_dpp v72, v100, v128 dpp8:[4, 4, 4, 4, 4, 4, 4, 4]
	;;#ASMEND
	;;#ASMSTART
	
 v_dot2c_f32_f16_dpp v73, v100, v128 dpp8:[5, 5, 5, 5, 5, 5, 5, 5]
	;;#ASMEND
	;;#ASMSTART
	
 v_dot2c_f32_f16_dpp v68, v100, v128 dpp8:[6, 6, 6, 6, 6, 6, 6, 6]
	;;#ASMEND
	;;#ASMSTART
	
 v_dot2c_f32_f16_dpp v70, v100, v128 dpp8:[7, 7, 7, 7, 7, 7, 7, 7]
	;;#ASMEND
	s_waitcnt lgkmcnt(14)
	;;#ASMSTART
	
 v_dot2c_f32_f16_dpp v82, v101, v129 dpp8:[0, 0, 0, 0, 0, 0, 0, 0]
	;;#ASMEND
	;;#ASMSTART
	
 v_dot2c_f32_f16_dpp v81, v101, v129 dpp8:[1, 1, 1, 1, 1, 1, 1, 1]
	;;#ASMEND
	;;#ASMSTART
	
 v_dot2c_f32_f16_dpp v77, v101, v129 dpp8:[2, 2, 2, 2, 2, 2, 2, 2]
	;;#ASMEND
	;;#ASMSTART
	
 v_dot2c_f32_f16_dpp v76, v101, v129 dpp8:[3, 3, 3, 3, 3, 3, 3, 3]
	;;#ASMEND
	;;#ASMSTART
	
 v_dot2c_f32_f16_dpp v72, v101, v129 dpp8:[4, 4, 4, 4, 4, 4, 4, 4]
	;;#ASMEND
	;;#ASMSTART
	
 v_dot2c_f32_f16_dpp v73, v101, v129 dpp8:[5, 5, 5, 5, 5, 5, 5, 5]
	;;#ASMEND
	;;#ASMSTART
	
 v_dot2c_f32_f16_dpp v68, v101, v129 dpp8:[6, 6, 6, 6, 6, 6, 6, 6]
	;;#ASMEND
	;;#ASMSTART
	
 v_dot2c_f32_f16_dpp v70, v101, v129 dpp8:[7, 7, 7, 7, 7, 7, 7, 7]
	;;#ASMEND
	;;#ASMSTART
	
 v_dot2c_f32_f16_dpp v82, v102, v130 dpp8:[0, 0, 0, 0, 0, 0, 0, 0]
	;;#ASMEND
	;;#ASMSTART
	
 v_dot2c_f32_f16_dpp v81, v102, v130 dpp8:[1, 1, 1, 1, 1, 1, 1, 1]
	;;#ASMEND
	;;#ASMSTART
	
 v_dot2c_f32_f16_dpp v77, v102, v130 dpp8:[2, 2, 2, 2, 2, 2, 2, 2]
	;;#ASMEND
	;;#ASMSTART
	
 v_dot2c_f32_f16_dpp v76, v102, v130 dpp8:[3, 3, 3, 3, 3, 3, 3, 3]
	;;#ASMEND
	;;#ASMSTART
	
 v_dot2c_f32_f16_dpp v72, v102, v130 dpp8:[4, 4, 4, 4, 4, 4, 4, 4]
	;;#ASMEND
	;;#ASMSTART
	
 v_dot2c_f32_f16_dpp v73, v102, v130 dpp8:[5, 5, 5, 5, 5, 5, 5, 5]
	;;#ASMEND
	;;#ASMSTART
	
 v_dot2c_f32_f16_dpp v68, v102, v130 dpp8:[6, 6, 6, 6, 6, 6, 6, 6]
	;;#ASMEND
	;;#ASMSTART
	
 v_dot2c_f32_f16_dpp v70, v102, v130 dpp8:[7, 7, 7, 7, 7, 7, 7, 7]
	;;#ASMEND
	s_waitcnt lgkmcnt(13)
	;;#ASMSTART
	
 v_dot2c_f32_f16_dpp v82, v103, v131 dpp8:[0, 0, 0, 0, 0, 0, 0, 0]
	;;#ASMEND
	;;#ASMSTART
	
 v_dot2c_f32_f16_dpp v81, v103, v131 dpp8:[1, 1, 1, 1, 1, 1, 1, 1]
	;;#ASMEND
	;;#ASMSTART
	
 v_dot2c_f32_f16_dpp v77, v103, v131 dpp8:[2, 2, 2, 2, 2, 2, 2, 2]
	;;#ASMEND
	;;#ASMSTART
	
 v_dot2c_f32_f16_dpp v76, v103, v131 dpp8:[3, 3, 3, 3, 3, 3, 3, 3]
	;;#ASMEND
	;;#ASMSTART
	
 v_dot2c_f32_f16_dpp v72, v103, v131 dpp8:[4, 4, 4, 4, 4, 4, 4, 4]
	;;#ASMEND
	;;#ASMSTART
	
 v_dot2c_f32_f16_dpp v73, v103, v131 dpp8:[5, 5, 5, 5, 5, 5, 5, 5]
	;;#ASMEND
	;;#ASMSTART
	
 v_dot2c_f32_f16_dpp v68, v103, v131 dpp8:[6, 6, 6, 6, 6, 6, 6, 6]
	;;#ASMEND
	;;#ASMSTART
	
 v_dot2c_f32_f16_dpp v70, v103, v131 dpp8:[7, 7, 7, 7, 7, 7, 7, 7]
	;;#ASMEND
	;;#ASMSTART
	
 v_dot2c_f32_f16_dpp v82, v104, v132 dpp8:[0, 0, 0, 0, 0, 0, 0, 0]
	;;#ASMEND
	;;#ASMSTART
	
 v_dot2c_f32_f16_dpp v81, v104, v132 dpp8:[1, 1, 1, 1, 1, 1, 1, 1]
	;;#ASMEND
	;;#ASMSTART
	
 v_dot2c_f32_f16_dpp v77, v104, v132 dpp8:[2, 2, 2, 2, 2, 2, 2, 2]
	;;#ASMEND
	;;#ASMSTART
	
 v_dot2c_f32_f16_dpp v76, v104, v132 dpp8:[3, 3, 3, 3, 3, 3, 3, 3]
	;;#ASMEND
	;;#ASMSTART
	
 v_dot2c_f32_f16_dpp v72, v104, v132 dpp8:[4, 4, 4, 4, 4, 4, 4, 4]
	;;#ASMEND
	;;#ASMSTART
	
 v_dot2c_f32_f16_dpp v73, v104, v132 dpp8:[5, 5, 5, 5, 5, 5, 5, 5]
	;;#ASMEND
	;;#ASMSTART
	
 v_dot2c_f32_f16_dpp v68, v104, v132 dpp8:[6, 6, 6, 6, 6, 6, 6, 6]
	;;#ASMEND
	;;#ASMSTART
	
 v_dot2c_f32_f16_dpp v70, v104, v132 dpp8:[7, 7, 7, 7, 7, 7, 7, 7]
	;;#ASMEND
	s_waitcnt lgkmcnt(12)
	;;#ASMSTART
	
 v_dot2c_f32_f16_dpp v82, v105, v133 dpp8:[0, 0, 0, 0, 0, 0, 0, 0]
	;;#ASMEND
	;;#ASMSTART
	
 v_dot2c_f32_f16_dpp v81, v105, v133 dpp8:[1, 1, 1, 1, 1, 1, 1, 1]
	;;#ASMEND
	;; [unrolled: 4-line block ×16, first 2 shown]
	s_waitcnt lgkmcnt(11)
	;;#ASMSTART
	
 v_dot2c_f32_f16_dpp v82, v107, v135 dpp8:[0, 0, 0, 0, 0, 0, 0, 0]
	;;#ASMEND
	;;#ASMSTART
	
 v_dot2c_f32_f16_dpp v81, v107, v135 dpp8:[1, 1, 1, 1, 1, 1, 1, 1]
	;;#ASMEND
	;;#ASMSTART
	
 v_dot2c_f32_f16_dpp v77, v107, v135 dpp8:[2, 2, 2, 2, 2, 2, 2, 2]
	;;#ASMEND
	;;#ASMSTART
	
 v_dot2c_f32_f16_dpp v76, v107, v135 dpp8:[3, 3, 3, 3, 3, 3, 3, 3]
	;;#ASMEND
	;;#ASMSTART
	
 v_dot2c_f32_f16_dpp v72, v107, v135 dpp8:[4, 4, 4, 4, 4, 4, 4, 4]
	;;#ASMEND
	;;#ASMSTART
	
 v_dot2c_f32_f16_dpp v73, v107, v135 dpp8:[5, 5, 5, 5, 5, 5, 5, 5]
	;;#ASMEND
	;;#ASMSTART
	
 v_dot2c_f32_f16_dpp v68, v107, v135 dpp8:[6, 6, 6, 6, 6, 6, 6, 6]
	;;#ASMEND
	;;#ASMSTART
	
 v_dot2c_f32_f16_dpp v70, v107, v135 dpp8:[7, 7, 7, 7, 7, 7, 7, 7]
	;;#ASMEND
	;;#ASMSTART
	
 v_dot2c_f32_f16_dpp v82, v108, v136 dpp8:[0, 0, 0, 0, 0, 0, 0, 0]
	;;#ASMEND
	;;#ASMSTART
	
 v_dot2c_f32_f16_dpp v81, v108, v136 dpp8:[1, 1, 1, 1, 1, 1, 1, 1]
	;;#ASMEND
	;;#ASMSTART
	
 v_dot2c_f32_f16_dpp v77, v108, v136 dpp8:[2, 2, 2, 2, 2, 2, 2, 2]
	;;#ASMEND
	;;#ASMSTART
	
 v_dot2c_f32_f16_dpp v76, v108, v136 dpp8:[3, 3, 3, 3, 3, 3, 3, 3]
	;;#ASMEND
	;;#ASMSTART
	
 v_dot2c_f32_f16_dpp v72, v108, v136 dpp8:[4, 4, 4, 4, 4, 4, 4, 4]
	;;#ASMEND
	;;#ASMSTART
	
 v_dot2c_f32_f16_dpp v73, v108, v136 dpp8:[5, 5, 5, 5, 5, 5, 5, 5]
	;;#ASMEND
	;;#ASMSTART
	
 v_dot2c_f32_f16_dpp v68, v108, v136 dpp8:[6, 6, 6, 6, 6, 6, 6, 6]
	;;#ASMEND
	;;#ASMSTART
	
 v_dot2c_f32_f16_dpp v70, v108, v136 dpp8:[7, 7, 7, 7, 7, 7, 7, 7]
	;;#ASMEND
	s_waitcnt lgkmcnt(10)
	;;#ASMSTART
	
 v_dot2c_f32_f16_dpp v82, v109, v137 dpp8:[0, 0, 0, 0, 0, 0, 0, 0]
	;;#ASMEND
	;;#ASMSTART
	
 v_dot2c_f32_f16_dpp v81, v109, v137 dpp8:[1, 1, 1, 1, 1, 1, 1, 1]
	;;#ASMEND
	;; [unrolled: 4-line block ×16, first 2 shown]
	s_waitcnt lgkmcnt(9)
	;;#ASMSTART
	
 v_dot2c_f32_f16_dpp v82, v111, v139 dpp8:[0, 0, 0, 0, 0, 0, 0, 0]
	;;#ASMEND
	;;#ASMSTART
	
 v_dot2c_f32_f16_dpp v81, v111, v139 dpp8:[1, 1, 1, 1, 1, 1, 1, 1]
	;;#ASMEND
	;; [unrolled: 4-line block ×16, first 2 shown]
	s_waitcnt lgkmcnt(8)
	;;#ASMSTART
	
 v_dot2c_f32_f16_dpp v82, v113, v141 dpp8:[0, 0, 0, 0, 0, 0, 0, 0]
	;;#ASMEND
	;;#ASMSTART
	
 v_dot2c_f32_f16_dpp v81, v113, v141 dpp8:[1, 1, 1, 1, 1, 1, 1, 1]
	;;#ASMEND
	;; [unrolled: 4-line block ×16, first 2 shown]
	s_waitcnt lgkmcnt(7)
	;;#ASMSTART
	
 v_dot2c_f32_f16_dpp v82, v115, v143 dpp8:[0, 0, 0, 0, 0, 0, 0, 0]
	;;#ASMEND
	;;#ASMSTART
	
 v_dot2c_f32_f16_dpp v81, v115, v143 dpp8:[1, 1, 1, 1, 1, 1, 1, 1]
	;;#ASMEND
	;; [unrolled: 4-line block ×16, first 2 shown]
	s_waitcnt lgkmcnt(6)
	;;#ASMSTART
	
 v_dot2c_f32_f16_dpp v82, v117, v145 dpp8:[0, 0, 0, 0, 0, 0, 0, 0]
	;;#ASMEND
	;;#ASMSTART
	
 v_dot2c_f32_f16_dpp v81, v117, v145 dpp8:[1, 1, 1, 1, 1, 1, 1, 1]
	;;#ASMEND
	;; [unrolled: 4-line block ×16, first 2 shown]
	s_waitcnt lgkmcnt(5)
	;;#ASMSTART
	
 v_dot2c_f32_f16_dpp v82, v119, v147 dpp8:[0, 0, 0, 0, 0, 0, 0, 0]
	;;#ASMEND
	;;#ASMSTART
	
 v_dot2c_f32_f16_dpp v81, v119, v147 dpp8:[1, 1, 1, 1, 1, 1, 1, 1]
	;;#ASMEND
	;; [unrolled: 4-line block ×16, first 2 shown]
	s_waitcnt lgkmcnt(4)
	;;#ASMSTART
	
 v_dot2c_f32_f16_dpp v82, v121, v149 dpp8:[0, 0, 0, 0, 0, 0, 0, 0]
	;;#ASMEND
	;;#ASMSTART
	
 v_dot2c_f32_f16_dpp v81, v121, v149 dpp8:[1, 1, 1, 1, 1, 1, 1, 1]
	;;#ASMEND
	;; [unrolled: 4-line block ×16, first 2 shown]
	s_waitcnt lgkmcnt(3)
	;;#ASMSTART
	
 v_dot2c_f32_f16_dpp v82, v123, v151 dpp8:[0, 0, 0, 0, 0, 0, 0, 0]
	;;#ASMEND
	;;#ASMSTART
	
 v_dot2c_f32_f16_dpp v81, v123, v151 dpp8:[1, 1, 1, 1, 1, 1, 1, 1]
	;;#ASMEND
	;;#ASMSTART
	
 v_dot2c_f32_f16_dpp v77, v123, v151 dpp8:[2, 2, 2, 2, 2, 2, 2, 2]
	;;#ASMEND
	;;#ASMSTART
	
 v_dot2c_f32_f16_dpp v76, v123, v151 dpp8:[3, 3, 3, 3, 3, 3, 3, 3]
	;;#ASMEND
	;;#ASMSTART
	
 v_dot2c_f32_f16_dpp v72, v123, v151 dpp8:[4, 4, 4, 4, 4, 4, 4, 4]
	;;#ASMEND
	;;#ASMSTART
	
 v_dot2c_f32_f16_dpp v73, v123, v151 dpp8:[5, 5, 5, 5, 5, 5, 5, 5]
	;;#ASMEND
	;;#ASMSTART
	
 v_dot2c_f32_f16_dpp v68, v123, v151 dpp8:[6, 6, 6, 6, 6, 6, 6, 6]
	;;#ASMEND
	;;#ASMSTART
	
 v_dot2c_f32_f16_dpp v70, v123, v151 dpp8:[7, 7, 7, 7, 7, 7, 7, 7]
	;;#ASMEND
	;;#ASMSTART
	
 v_dot2c_f32_f16_dpp v82, v124, v152 dpp8:[0, 0, 0, 0, 0, 0, 0, 0]
	;;#ASMEND
	;;#ASMSTART
	
 v_dot2c_f32_f16_dpp v81, v124, v152 dpp8:[1, 1, 1, 1, 1, 1, 1, 1]
	;;#ASMEND
	;;#ASMSTART
	
 v_dot2c_f32_f16_dpp v77, v124, v152 dpp8:[2, 2, 2, 2, 2, 2, 2, 2]
	;;#ASMEND
	;;#ASMSTART
	
 v_dot2c_f32_f16_dpp v76, v124, v152 dpp8:[3, 3, 3, 3, 3, 3, 3, 3]
	;;#ASMEND
	;;#ASMSTART
	
 v_dot2c_f32_f16_dpp v72, v124, v152 dpp8:[4, 4, 4, 4, 4, 4, 4, 4]
	;;#ASMEND
	;;#ASMSTART
	
 v_dot2c_f32_f16_dpp v73, v124, v152 dpp8:[5, 5, 5, 5, 5, 5, 5, 5]
	;;#ASMEND
	;;#ASMSTART
	
 v_dot2c_f32_f16_dpp v68, v124, v152 dpp8:[6, 6, 6, 6, 6, 6, 6, 6]
	;;#ASMEND
	;;#ASMSTART
	
 v_dot2c_f32_f16_dpp v70, v124, v152 dpp8:[7, 7, 7, 7, 7, 7, 7, 7]
	;;#ASMEND
	s_waitcnt lgkmcnt(2)
	;;#ASMSTART
	
 v_dot2c_f32_f16_dpp v82, v125, v153 dpp8:[0, 0, 0, 0, 0, 0, 0, 0]
	;;#ASMEND
	;;#ASMSTART
	
 v_dot2c_f32_f16_dpp v81, v125, v153 dpp8:[1, 1, 1, 1, 1, 1, 1, 1]
	;;#ASMEND
	;; [unrolled: 4-line block ×16, first 2 shown]
	s_waitcnt lgkmcnt(1)
	;;#ASMSTART
	
 v_dot2c_f32_f16_dpp v82, v33, v155 dpp8:[0, 0, 0, 0, 0, 0, 0, 0]
	;;#ASMEND
	;;#ASMSTART
	
 v_dot2c_f32_f16_dpp v81, v33, v155 dpp8:[1, 1, 1, 1, 1, 1, 1, 1]
	;;#ASMEND
	;; [unrolled: 4-line block ×16, first 2 shown]
	s_waitcnt lgkmcnt(0)
	;;#ASMSTART
	
 v_dot2c_f32_f16_dpp v82, v35, v157 dpp8:[0, 0, 0, 0, 0, 0, 0, 0]
	;;#ASMEND
	;;#ASMSTART
	
 v_dot2c_f32_f16_dpp v81, v35, v157 dpp8:[1, 1, 1, 1, 1, 1, 1, 1]
	;;#ASMEND
	;;#ASMSTART
	
 v_dot2c_f32_f16_dpp v77, v35, v157 dpp8:[2, 2, 2, 2, 2, 2, 2, 2]
	;;#ASMEND
	;;#ASMSTART
	
 v_dot2c_f32_f16_dpp v76, v35, v157 dpp8:[3, 3, 3, 3, 3, 3, 3, 3]
	;;#ASMEND
	;;#ASMSTART
	
 v_dot2c_f32_f16_dpp v72, v35, v157 dpp8:[4, 4, 4, 4, 4, 4, 4, 4]
	;;#ASMEND
	;;#ASMSTART
	
 v_dot2c_f32_f16_dpp v73, v35, v157 dpp8:[5, 5, 5, 5, 5, 5, 5, 5]
	;;#ASMEND
	;;#ASMSTART
	
 v_dot2c_f32_f16_dpp v68, v35, v157 dpp8:[6, 6, 6, 6, 6, 6, 6, 6]
	;;#ASMEND
	;;#ASMSTART
	
 v_dot2c_f32_f16_dpp v70, v35, v157 dpp8:[7, 7, 7, 7, 7, 7, 7, 7]
	;;#ASMEND
	;;#ASMSTART
	
 v_dot2c_f32_f16_dpp v82, v36, v158 dpp8:[0, 0, 0, 0, 0, 0, 0, 0]
	;;#ASMEND
	;;#ASMSTART
	
 v_dot2c_f32_f16_dpp v81, v36, v158 dpp8:[1, 1, 1, 1, 1, 1, 1, 1]
	;;#ASMEND
	;;#ASMSTART
	
 v_dot2c_f32_f16_dpp v77, v36, v158 dpp8:[2, 2, 2, 2, 2, 2, 2, 2]
	;;#ASMEND
	;;#ASMSTART
	
 v_dot2c_f32_f16_dpp v76, v36, v158 dpp8:[3, 3, 3, 3, 3, 3, 3, 3]
	;;#ASMEND
	;;#ASMSTART
	
 v_dot2c_f32_f16_dpp v72, v36, v158 dpp8:[4, 4, 4, 4, 4, 4, 4, 4]
	;;#ASMEND
	;;#ASMSTART
	
 v_dot2c_f32_f16_dpp v73, v36, v158 dpp8:[5, 5, 5, 5, 5, 5, 5, 5]
	;;#ASMEND
	;;#ASMSTART
	
 v_dot2c_f32_f16_dpp v68, v36, v158 dpp8:[6, 6, 6, 6, 6, 6, 6, 6]
	;;#ASMEND
	;;#ASMSTART
	
 v_dot2c_f32_f16_dpp v70, v36, v158 dpp8:[7, 7, 7, 7, 7, 7, 7, 7]
	;;#ASMEND
	ds_read2_b32 v[127:128], v40 offset0:28 offset1:93
	ds_read2_b32 v[129:130], v40 offset0:158 offset1:223
	;; [unrolled: 1-line block ×4, first 2 shown]
	ds_read_b128 v[99:102], v85 offset:512
	ds_read2_b32 v[135:136], v42 offset0:36 offset1:101
	ds_read2_b32 v[137:138], v42 offset0:166 offset1:231
	ds_read2_b32 v[139:140], v43 offset0:40 offset1:105
	ds_read2_b32 v[141:142], v43 offset0:170 offset1:235
	ds_read2_b32 v[143:144], v44 offset0:44 offset1:109
	ds_read2_b32 v[145:146], v44 offset0:174 offset1:239
	ds_read2_b32 v[147:148], v45 offset0:48 offset1:113
	ds_read2_b32 v[149:150], v45 offset0:178 offset1:243
	ds_read2_b32 v[151:152], v46 offset0:52 offset1:117
	ds_read2_b32 v[153:154], v46 offset0:182 offset1:247
	ds_read2_b32 v[155:156], v47 offset0:56 offset1:121
	ds_read2_b32 v[157:158], v47 offset0:186 offset1:251
	ds_read_b128 v[103:106], v85 offset:1552
	ds_read_b128 v[107:110], v85 offset:2592
	;; [unrolled: 1-line block ×7, first 2 shown]
	s_waitcnt lgkmcnt(19)
	;;#ASMSTART
	
 v_dot2c_f32_f16_dpp v52, v99, v127 dpp8:[0, 0, 0, 0, 0, 0, 0, 0]
	;;#ASMEND
	;;#ASMSTART
	
 v_dot2c_f32_f16_dpp v55, v99, v127 dpp8:[1, 1, 1, 1, 1, 1, 1, 1]
	;;#ASMEND
	;;#ASMSTART
	
 v_dot2c_f32_f16_dpp v56, v99, v127 dpp8:[2, 2, 2, 2, 2, 2, 2, 2]
	;;#ASMEND
	;;#ASMSTART
	
 v_dot2c_f32_f16_dpp v59, v99, v127 dpp8:[3, 3, 3, 3, 3, 3, 3, 3]
	;;#ASMEND
	;;#ASMSTART
	
 v_dot2c_f32_f16_dpp v60, v99, v127 dpp8:[4, 4, 4, 4, 4, 4, 4, 4]
	;;#ASMEND
	;;#ASMSTART
	
 v_dot2c_f32_f16_dpp v62, v99, v127 dpp8:[5, 5, 5, 5, 5, 5, 5, 5]
	;;#ASMEND
	;;#ASMSTART
	
 v_dot2c_f32_f16_dpp v64, v99, v127 dpp8:[6, 6, 6, 6, 6, 6, 6, 6]
	;;#ASMEND
	;;#ASMSTART
	
 v_dot2c_f32_f16_dpp v67, v99, v127 dpp8:[7, 7, 7, 7, 7, 7, 7, 7]
	;;#ASMEND
	;;#ASMSTART
	
 v_dot2c_f32_f16_dpp v52, v100, v128 dpp8:[0, 0, 0, 0, 0, 0, 0, 0]
	;;#ASMEND
	;;#ASMSTART
	
 v_dot2c_f32_f16_dpp v55, v100, v128 dpp8:[1, 1, 1, 1, 1, 1, 1, 1]
	;;#ASMEND
	;;#ASMSTART
	
 v_dot2c_f32_f16_dpp v56, v100, v128 dpp8:[2, 2, 2, 2, 2, 2, 2, 2]
	;;#ASMEND
	;;#ASMSTART
	
 v_dot2c_f32_f16_dpp v59, v100, v128 dpp8:[3, 3, 3, 3, 3, 3, 3, 3]
	;;#ASMEND
	;;#ASMSTART
	
 v_dot2c_f32_f16_dpp v60, v100, v128 dpp8:[4, 4, 4, 4, 4, 4, 4, 4]
	;;#ASMEND
	;;#ASMSTART
	
 v_dot2c_f32_f16_dpp v62, v100, v128 dpp8:[5, 5, 5, 5, 5, 5, 5, 5]
	;;#ASMEND
	;;#ASMSTART
	
 v_dot2c_f32_f16_dpp v64, v100, v128 dpp8:[6, 6, 6, 6, 6, 6, 6, 6]
	;;#ASMEND
	;;#ASMSTART
	
 v_dot2c_f32_f16_dpp v67, v100, v128 dpp8:[7, 7, 7, 7, 7, 7, 7, 7]
	;;#ASMEND
	;;#ASMSTART
	
 v_dot2c_f32_f16_dpp v52, v101, v129 dpp8:[0, 0, 0, 0, 0, 0, 0, 0]
	;;#ASMEND
	;;#ASMSTART
	
 v_dot2c_f32_f16_dpp v55, v101, v129 dpp8:[1, 1, 1, 1, 1, 1, 1, 1]
	;;#ASMEND
	;;#ASMSTART
	
 v_dot2c_f32_f16_dpp v56, v101, v129 dpp8:[2, 2, 2, 2, 2, 2, 2, 2]
	;;#ASMEND
	;;#ASMSTART
	
 v_dot2c_f32_f16_dpp v59, v101, v129 dpp8:[3, 3, 3, 3, 3, 3, 3, 3]
	;;#ASMEND
	;;#ASMSTART
	
 v_dot2c_f32_f16_dpp v60, v101, v129 dpp8:[4, 4, 4, 4, 4, 4, 4, 4]
	;;#ASMEND
	;;#ASMSTART
	
 v_dot2c_f32_f16_dpp v62, v101, v129 dpp8:[5, 5, 5, 5, 5, 5, 5, 5]
	;;#ASMEND
	;;#ASMSTART
	
 v_dot2c_f32_f16_dpp v64, v101, v129 dpp8:[6, 6, 6, 6, 6, 6, 6, 6]
	;;#ASMEND
	;;#ASMSTART
	
 v_dot2c_f32_f16_dpp v67, v101, v129 dpp8:[7, 7, 7, 7, 7, 7, 7, 7]
	;;#ASMEND
	;;#ASMSTART
	
 v_dot2c_f32_f16_dpp v52, v102, v130 dpp8:[0, 0, 0, 0, 0, 0, 0, 0]
	;;#ASMEND
	;;#ASMSTART
	
 v_dot2c_f32_f16_dpp v55, v102, v130 dpp8:[1, 1, 1, 1, 1, 1, 1, 1]
	;;#ASMEND
	;;#ASMSTART
	
 v_dot2c_f32_f16_dpp v56, v102, v130 dpp8:[2, 2, 2, 2, 2, 2, 2, 2]
	;;#ASMEND
	;;#ASMSTART
	
 v_dot2c_f32_f16_dpp v59, v102, v130 dpp8:[3, 3, 3, 3, 3, 3, 3, 3]
	;;#ASMEND
	;;#ASMSTART
	
 v_dot2c_f32_f16_dpp v60, v102, v130 dpp8:[4, 4, 4, 4, 4, 4, 4, 4]
	;;#ASMEND
	;;#ASMSTART
	
 v_dot2c_f32_f16_dpp v62, v102, v130 dpp8:[5, 5, 5, 5, 5, 5, 5, 5]
	;;#ASMEND
	;;#ASMSTART
	
 v_dot2c_f32_f16_dpp v64, v102, v130 dpp8:[6, 6, 6, 6, 6, 6, 6, 6]
	;;#ASMEND
	;;#ASMSTART
	
 v_dot2c_f32_f16_dpp v67, v102, v130 dpp8:[7, 7, 7, 7, 7, 7, 7, 7]
	;;#ASMEND
	s_waitcnt lgkmcnt(6)
	;;#ASMSTART
	
 v_dot2c_f32_f16_dpp v52, v103, v131 dpp8:[0, 0, 0, 0, 0, 0, 0, 0]
	;;#ASMEND
	;;#ASMSTART
	
 v_dot2c_f32_f16_dpp v55, v103, v131 dpp8:[1, 1, 1, 1, 1, 1, 1, 1]
	;;#ASMEND
	;;#ASMSTART
	
 v_dot2c_f32_f16_dpp v56, v103, v131 dpp8:[2, 2, 2, 2, 2, 2, 2, 2]
	;;#ASMEND
	;;#ASMSTART
	
 v_dot2c_f32_f16_dpp v59, v103, v131 dpp8:[3, 3, 3, 3, 3, 3, 3, 3]
	;;#ASMEND
	;;#ASMSTART
	
 v_dot2c_f32_f16_dpp v60, v103, v131 dpp8:[4, 4, 4, 4, 4, 4, 4, 4]
	;;#ASMEND
	;;#ASMSTART
	
 v_dot2c_f32_f16_dpp v62, v103, v131 dpp8:[5, 5, 5, 5, 5, 5, 5, 5]
	;;#ASMEND
	;;#ASMSTART
	
 v_dot2c_f32_f16_dpp v64, v103, v131 dpp8:[6, 6, 6, 6, 6, 6, 6, 6]
	;;#ASMEND
	;;#ASMSTART
	
 v_dot2c_f32_f16_dpp v67, v103, v131 dpp8:[7, 7, 7, 7, 7, 7, 7, 7]
	;;#ASMEND
	;;#ASMSTART
	
 v_dot2c_f32_f16_dpp v52, v104, v132 dpp8:[0, 0, 0, 0, 0, 0, 0, 0]
	;;#ASMEND
	;;#ASMSTART
	
 v_dot2c_f32_f16_dpp v55, v104, v132 dpp8:[1, 1, 1, 1, 1, 1, 1, 1]
	;;#ASMEND
	;;#ASMSTART
	
 v_dot2c_f32_f16_dpp v56, v104, v132 dpp8:[2, 2, 2, 2, 2, 2, 2, 2]
	;;#ASMEND
	;;#ASMSTART
	
 v_dot2c_f32_f16_dpp v59, v104, v132 dpp8:[3, 3, 3, 3, 3, 3, 3, 3]
	;;#ASMEND
	;;#ASMSTART
	
 v_dot2c_f32_f16_dpp v60, v104, v132 dpp8:[4, 4, 4, 4, 4, 4, 4, 4]
	;;#ASMEND
	;;#ASMSTART
	
 v_dot2c_f32_f16_dpp v62, v104, v132 dpp8:[5, 5, 5, 5, 5, 5, 5, 5]
	;;#ASMEND
	;;#ASMSTART
	
 v_dot2c_f32_f16_dpp v64, v104, v132 dpp8:[6, 6, 6, 6, 6, 6, 6, 6]
	;;#ASMEND
	;;#ASMSTART
	
 v_dot2c_f32_f16_dpp v67, v104, v132 dpp8:[7, 7, 7, 7, 7, 7, 7, 7]
	;;#ASMEND
	;;#ASMSTART
	
 v_dot2c_f32_f16_dpp v52, v105, v133 dpp8:[0, 0, 0, 0, 0, 0, 0, 0]
	;;#ASMEND
	;;#ASMSTART
	
 v_dot2c_f32_f16_dpp v55, v105, v133 dpp8:[1, 1, 1, 1, 1, 1, 1, 1]
	;;#ASMEND
	;;#ASMSTART
	
 v_dot2c_f32_f16_dpp v56, v105, v133 dpp8:[2, 2, 2, 2, 2, 2, 2, 2]
	;;#ASMEND
	;;#ASMSTART
	
 v_dot2c_f32_f16_dpp v59, v105, v133 dpp8:[3, 3, 3, 3, 3, 3, 3, 3]
	;;#ASMEND
	;;#ASMSTART
	
 v_dot2c_f32_f16_dpp v60, v105, v133 dpp8:[4, 4, 4, 4, 4, 4, 4, 4]
	;;#ASMEND
	;;#ASMSTART
	
 v_dot2c_f32_f16_dpp v62, v105, v133 dpp8:[5, 5, 5, 5, 5, 5, 5, 5]
	;;#ASMEND
	;;#ASMSTART
	
 v_dot2c_f32_f16_dpp v64, v105, v133 dpp8:[6, 6, 6, 6, 6, 6, 6, 6]
	;;#ASMEND
	;;#ASMSTART
	
 v_dot2c_f32_f16_dpp v67, v105, v133 dpp8:[7, 7, 7, 7, 7, 7, 7, 7]
	;;#ASMEND
	;;#ASMSTART
	
 v_dot2c_f32_f16_dpp v52, v106, v134 dpp8:[0, 0, 0, 0, 0, 0, 0, 0]
	;;#ASMEND
	;;#ASMSTART
	
 v_dot2c_f32_f16_dpp v55, v106, v134 dpp8:[1, 1, 1, 1, 1, 1, 1, 1]
	;;#ASMEND
	;;#ASMSTART
	
 v_dot2c_f32_f16_dpp v56, v106, v134 dpp8:[2, 2, 2, 2, 2, 2, 2, 2]
	;;#ASMEND
	;;#ASMSTART
	
 v_dot2c_f32_f16_dpp v59, v106, v134 dpp8:[3, 3, 3, 3, 3, 3, 3, 3]
	;;#ASMEND
	;;#ASMSTART
	
 v_dot2c_f32_f16_dpp v60, v106, v134 dpp8:[4, 4, 4, 4, 4, 4, 4, 4]
	;;#ASMEND
	;;#ASMSTART
	
 v_dot2c_f32_f16_dpp v62, v106, v134 dpp8:[5, 5, 5, 5, 5, 5, 5, 5]
	;;#ASMEND
	;;#ASMSTART
	
 v_dot2c_f32_f16_dpp v64, v106, v134 dpp8:[6, 6, 6, 6, 6, 6, 6, 6]
	;;#ASMEND
	;;#ASMSTART
	
 v_dot2c_f32_f16_dpp v67, v106, v134 dpp8:[7, 7, 7, 7, 7, 7, 7, 7]
	;;#ASMEND
	s_waitcnt lgkmcnt(5)
	;;#ASMSTART
	
 v_dot2c_f32_f16_dpp v52, v107, v135 dpp8:[0, 0, 0, 0, 0, 0, 0, 0]
	;;#ASMEND
	;;#ASMSTART
	
 v_dot2c_f32_f16_dpp v55, v107, v135 dpp8:[1, 1, 1, 1, 1, 1, 1, 1]
	;;#ASMEND
	;; [unrolled: 4-line block ×32, first 2 shown]
	s_waitcnt lgkmcnt(4)
	;;#ASMSTART
	
 v_dot2c_f32_f16_dpp v52, v111, v139 dpp8:[0, 0, 0, 0, 0, 0, 0, 0]
	;;#ASMEND
	;;#ASMSTART
	
 v_dot2c_f32_f16_dpp v55, v111, v139 dpp8:[1, 1, 1, 1, 1, 1, 1, 1]
	;;#ASMEND
	;; [unrolled: 4-line block ×32, first 2 shown]
	s_waitcnt lgkmcnt(3)
	;;#ASMSTART
	
 v_dot2c_f32_f16_dpp v52, v115, v143 dpp8:[0, 0, 0, 0, 0, 0, 0, 0]
	;;#ASMEND
	;;#ASMSTART
	
 v_dot2c_f32_f16_dpp v55, v115, v143 dpp8:[1, 1, 1, 1, 1, 1, 1, 1]
	;;#ASMEND
	;; [unrolled: 4-line block ×32, first 2 shown]
	s_waitcnt lgkmcnt(2)
	;;#ASMSTART
	
 v_dot2c_f32_f16_dpp v52, v119, v147 dpp8:[0, 0, 0, 0, 0, 0, 0, 0]
	;;#ASMEND
	;;#ASMSTART
	
 v_dot2c_f32_f16_dpp v55, v119, v147 dpp8:[1, 1, 1, 1, 1, 1, 1, 1]
	;;#ASMEND
	;;#ASMSTART
	
 v_dot2c_f32_f16_dpp v56, v119, v147 dpp8:[2, 2, 2, 2, 2, 2, 2, 2]
	;;#ASMEND
	;;#ASMSTART
	
 v_dot2c_f32_f16_dpp v59, v119, v147 dpp8:[3, 3, 3, 3, 3, 3, 3, 3]
	;;#ASMEND
	;;#ASMSTART
	
 v_dot2c_f32_f16_dpp v60, v119, v147 dpp8:[4, 4, 4, 4, 4, 4, 4, 4]
	;;#ASMEND
	;;#ASMSTART
	
 v_dot2c_f32_f16_dpp v62, v119, v147 dpp8:[5, 5, 5, 5, 5, 5, 5, 5]
	;;#ASMEND
	;;#ASMSTART
	
 v_dot2c_f32_f16_dpp v64, v119, v147 dpp8:[6, 6, 6, 6, 6, 6, 6, 6]
	;;#ASMEND
	;;#ASMSTART
	
 v_dot2c_f32_f16_dpp v67, v119, v147 dpp8:[7, 7, 7, 7, 7, 7, 7, 7]
	;;#ASMEND
	;;#ASMSTART
	
 v_dot2c_f32_f16_dpp v52, v120, v148 dpp8:[0, 0, 0, 0, 0, 0, 0, 0]
	;;#ASMEND
	;;#ASMSTART
	
 v_dot2c_f32_f16_dpp v55, v120, v148 dpp8:[1, 1, 1, 1, 1, 1, 1, 1]
	;;#ASMEND
	;;#ASMSTART
	
 v_dot2c_f32_f16_dpp v56, v120, v148 dpp8:[2, 2, 2, 2, 2, 2, 2, 2]
	;;#ASMEND
	;;#ASMSTART
	
 v_dot2c_f32_f16_dpp v59, v120, v148 dpp8:[3, 3, 3, 3, 3, 3, 3, 3]
	;;#ASMEND
	;;#ASMSTART
	
 v_dot2c_f32_f16_dpp v60, v120, v148 dpp8:[4, 4, 4, 4, 4, 4, 4, 4]
	;;#ASMEND
	;;#ASMSTART
	
 v_dot2c_f32_f16_dpp v62, v120, v148 dpp8:[5, 5, 5, 5, 5, 5, 5, 5]
	;;#ASMEND
	;;#ASMSTART
	
 v_dot2c_f32_f16_dpp v64, v120, v148 dpp8:[6, 6, 6, 6, 6, 6, 6, 6]
	;;#ASMEND
	;;#ASMSTART
	
 v_dot2c_f32_f16_dpp v67, v120, v148 dpp8:[7, 7, 7, 7, 7, 7, 7, 7]
	;;#ASMEND
	;;#ASMSTART
	
 v_dot2c_f32_f16_dpp v52, v121, v149 dpp8:[0, 0, 0, 0, 0, 0, 0, 0]
	;;#ASMEND
	;;#ASMSTART
	
 v_dot2c_f32_f16_dpp v55, v121, v149 dpp8:[1, 1, 1, 1, 1, 1, 1, 1]
	;;#ASMEND
	;;#ASMSTART
	
 v_dot2c_f32_f16_dpp v56, v121, v149 dpp8:[2, 2, 2, 2, 2, 2, 2, 2]
	;;#ASMEND
	;;#ASMSTART
	
 v_dot2c_f32_f16_dpp v59, v121, v149 dpp8:[3, 3, 3, 3, 3, 3, 3, 3]
	;;#ASMEND
	;;#ASMSTART
	
 v_dot2c_f32_f16_dpp v60, v121, v149 dpp8:[4, 4, 4, 4, 4, 4, 4, 4]
	;;#ASMEND
	;;#ASMSTART
	
 v_dot2c_f32_f16_dpp v62, v121, v149 dpp8:[5, 5, 5, 5, 5, 5, 5, 5]
	;;#ASMEND
	;;#ASMSTART
	
 v_dot2c_f32_f16_dpp v64, v121, v149 dpp8:[6, 6, 6, 6, 6, 6, 6, 6]
	;;#ASMEND
	;;#ASMSTART
	
 v_dot2c_f32_f16_dpp v67, v121, v149 dpp8:[7, 7, 7, 7, 7, 7, 7, 7]
	;;#ASMEND
	;;#ASMSTART
	
 v_dot2c_f32_f16_dpp v52, v122, v150 dpp8:[0, 0, 0, 0, 0, 0, 0, 0]
	;;#ASMEND
	;;#ASMSTART
	
 v_dot2c_f32_f16_dpp v55, v122, v150 dpp8:[1, 1, 1, 1, 1, 1, 1, 1]
	;;#ASMEND
	;;#ASMSTART
	
 v_dot2c_f32_f16_dpp v56, v122, v150 dpp8:[2, 2, 2, 2, 2, 2, 2, 2]
	;;#ASMEND
	;;#ASMSTART
	
 v_dot2c_f32_f16_dpp v59, v122, v150 dpp8:[3, 3, 3, 3, 3, 3, 3, 3]
	;;#ASMEND
	;;#ASMSTART
	
 v_dot2c_f32_f16_dpp v60, v122, v150 dpp8:[4, 4, 4, 4, 4, 4, 4, 4]
	;;#ASMEND
	;;#ASMSTART
	
 v_dot2c_f32_f16_dpp v62, v122, v150 dpp8:[5, 5, 5, 5, 5, 5, 5, 5]
	;;#ASMEND
	;;#ASMSTART
	
 v_dot2c_f32_f16_dpp v64, v122, v150 dpp8:[6, 6, 6, 6, 6, 6, 6, 6]
	;;#ASMEND
	;;#ASMSTART
	
 v_dot2c_f32_f16_dpp v67, v122, v150 dpp8:[7, 7, 7, 7, 7, 7, 7, 7]
	;;#ASMEND
	s_waitcnt lgkmcnt(1)
	;;#ASMSTART
	
 v_dot2c_f32_f16_dpp v52, v123, v151 dpp8:[0, 0, 0, 0, 0, 0, 0, 0]
	;;#ASMEND
	;;#ASMSTART
	
 v_dot2c_f32_f16_dpp v55, v123, v151 dpp8:[1, 1, 1, 1, 1, 1, 1, 1]
	;;#ASMEND
	;; [unrolled: 4-line block ×32, first 2 shown]
	s_waitcnt lgkmcnt(0)
	;;#ASMSTART
	
 v_dot2c_f32_f16_dpp v52, v33, v155 dpp8:[0, 0, 0, 0, 0, 0, 0, 0]
	;;#ASMEND
	;;#ASMSTART
	
 v_dot2c_f32_f16_dpp v55, v33, v155 dpp8:[1, 1, 1, 1, 1, 1, 1, 1]
	;;#ASMEND
	;; [unrolled: 4-line block ×32, first 2 shown]
	ds_read2_b32 v[127:128], v40 offset0:60 offset1:125
	ds_read2_b32 v[129:130], v40 offset0:190 offset1:255
	;; [unrolled: 1-line block ×16, first 2 shown]
	s_waitcnt lgkmcnt(15)
	;;#ASMSTART
	
 v_dot2c_f32_f16_dpp v53, v99, v127 dpp8:[0, 0, 0, 0, 0, 0, 0, 0]
	;;#ASMEND
	;;#ASMSTART
	
 v_dot2c_f32_f16_dpp v54, v99, v127 dpp8:[1, 1, 1, 1, 1, 1, 1, 1]
	;;#ASMEND
	;; [unrolled: 4-line block ×16, first 2 shown]
	s_waitcnt lgkmcnt(14)
	;;#ASMSTART
	
 v_dot2c_f32_f16_dpp v53, v101, v129 dpp8:[0, 0, 0, 0, 0, 0, 0, 0]
	;;#ASMEND
	;;#ASMSTART
	
 v_dot2c_f32_f16_dpp v54, v101, v129 dpp8:[1, 1, 1, 1, 1, 1, 1, 1]
	;;#ASMEND
	;; [unrolled: 4-line block ×16, first 2 shown]
	s_waitcnt lgkmcnt(13)
	;;#ASMSTART
	
 v_dot2c_f32_f16_dpp v53, v103, v131 dpp8:[0, 0, 0, 0, 0, 0, 0, 0]
	;;#ASMEND
	;;#ASMSTART
	
 v_dot2c_f32_f16_dpp v54, v103, v131 dpp8:[1, 1, 1, 1, 1, 1, 1, 1]
	;;#ASMEND
	;; [unrolled: 4-line block ×16, first 2 shown]
	s_waitcnt lgkmcnt(12)
	;;#ASMSTART
	
 v_dot2c_f32_f16_dpp v53, v105, v133 dpp8:[0, 0, 0, 0, 0, 0, 0, 0]
	;;#ASMEND
	;;#ASMSTART
	
 v_dot2c_f32_f16_dpp v54, v105, v133 dpp8:[1, 1, 1, 1, 1, 1, 1, 1]
	;;#ASMEND
	;; [unrolled: 4-line block ×16, first 2 shown]
	s_waitcnt lgkmcnt(11)
	;;#ASMSTART
	
 v_dot2c_f32_f16_dpp v53, v107, v135 dpp8:[0, 0, 0, 0, 0, 0, 0, 0]
	;;#ASMEND
	;;#ASMSTART
	
 v_dot2c_f32_f16_dpp v54, v107, v135 dpp8:[1, 1, 1, 1, 1, 1, 1, 1]
	;;#ASMEND
	;; [unrolled: 4-line block ×16, first 2 shown]
	s_waitcnt lgkmcnt(10)
	;;#ASMSTART
	
 v_dot2c_f32_f16_dpp v53, v109, v137 dpp8:[0, 0, 0, 0, 0, 0, 0, 0]
	;;#ASMEND
	;;#ASMSTART
	
 v_dot2c_f32_f16_dpp v54, v109, v137 dpp8:[1, 1, 1, 1, 1, 1, 1, 1]
	;;#ASMEND
	;; [unrolled: 4-line block ×16, first 2 shown]
	s_waitcnt lgkmcnt(9)
	;;#ASMSTART
	
 v_dot2c_f32_f16_dpp v53, v111, v139 dpp8:[0, 0, 0, 0, 0, 0, 0, 0]
	;;#ASMEND
	;;#ASMSTART
	
 v_dot2c_f32_f16_dpp v54, v111, v139 dpp8:[1, 1, 1, 1, 1, 1, 1, 1]
	;;#ASMEND
	;; [unrolled: 4-line block ×16, first 2 shown]
	s_waitcnt lgkmcnt(8)
	;;#ASMSTART
	
 v_dot2c_f32_f16_dpp v53, v113, v141 dpp8:[0, 0, 0, 0, 0, 0, 0, 0]
	;;#ASMEND
	;;#ASMSTART
	
 v_dot2c_f32_f16_dpp v54, v113, v141 dpp8:[1, 1, 1, 1, 1, 1, 1, 1]
	;;#ASMEND
	;;#ASMSTART
	
 v_dot2c_f32_f16_dpp v57, v113, v141 dpp8:[2, 2, 2, 2, 2, 2, 2, 2]
	;;#ASMEND
	;;#ASMSTART
	
 v_dot2c_f32_f16_dpp v58, v113, v141 dpp8:[3, 3, 3, 3, 3, 3, 3, 3]
	;;#ASMEND
	;;#ASMSTART
	
 v_dot2c_f32_f16_dpp v61, v113, v141 dpp8:[4, 4, 4, 4, 4, 4, 4, 4]
	;;#ASMEND
	;;#ASMSTART
	
 v_dot2c_f32_f16_dpp v63, v113, v141 dpp8:[5, 5, 5, 5, 5, 5, 5, 5]
	;;#ASMEND
	;;#ASMSTART
	
 v_dot2c_f32_f16_dpp v66, v113, v141 dpp8:[6, 6, 6, 6, 6, 6, 6, 6]
	;;#ASMEND
	;;#ASMSTART
	
 v_dot2c_f32_f16_dpp v78, v113, v141 dpp8:[7, 7, 7, 7, 7, 7, 7, 7]
	;;#ASMEND
	;;#ASMSTART
	
 v_dot2c_f32_f16_dpp v53, v114, v142 dpp8:[0, 0, 0, 0, 0, 0, 0, 0]
	;;#ASMEND
	;;#ASMSTART
	
 v_dot2c_f32_f16_dpp v54, v114, v142 dpp8:[1, 1, 1, 1, 1, 1, 1, 1]
	;;#ASMEND
	;;#ASMSTART
	
 v_dot2c_f32_f16_dpp v57, v114, v142 dpp8:[2, 2, 2, 2, 2, 2, 2, 2]
	;;#ASMEND
	;;#ASMSTART
	
 v_dot2c_f32_f16_dpp v58, v114, v142 dpp8:[3, 3, 3, 3, 3, 3, 3, 3]
	;;#ASMEND
	;;#ASMSTART
	
 v_dot2c_f32_f16_dpp v61, v114, v142 dpp8:[4, 4, 4, 4, 4, 4, 4, 4]
	;;#ASMEND
	;;#ASMSTART
	
 v_dot2c_f32_f16_dpp v63, v114, v142 dpp8:[5, 5, 5, 5, 5, 5, 5, 5]
	;;#ASMEND
	;;#ASMSTART
	
 v_dot2c_f32_f16_dpp v66, v114, v142 dpp8:[6, 6, 6, 6, 6, 6, 6, 6]
	;;#ASMEND
	;;#ASMSTART
	
 v_dot2c_f32_f16_dpp v78, v114, v142 dpp8:[7, 7, 7, 7, 7, 7, 7, 7]
	;;#ASMEND
	s_waitcnt lgkmcnt(7)
	;;#ASMSTART
	
 v_dot2c_f32_f16_dpp v53, v115, v143 dpp8:[0, 0, 0, 0, 0, 0, 0, 0]
	;;#ASMEND
	;;#ASMSTART
	
 v_dot2c_f32_f16_dpp v54, v115, v143 dpp8:[1, 1, 1, 1, 1, 1, 1, 1]
	;;#ASMEND
	;;#ASMSTART
	
 v_dot2c_f32_f16_dpp v57, v115, v143 dpp8:[2, 2, 2, 2, 2, 2, 2, 2]
	;;#ASMEND
	;;#ASMSTART
	
 v_dot2c_f32_f16_dpp v58, v115, v143 dpp8:[3, 3, 3, 3, 3, 3, 3, 3]
	;;#ASMEND
	;;#ASMSTART
	
 v_dot2c_f32_f16_dpp v61, v115, v143 dpp8:[4, 4, 4, 4, 4, 4, 4, 4]
	;;#ASMEND
	;;#ASMSTART
	
 v_dot2c_f32_f16_dpp v63, v115, v143 dpp8:[5, 5, 5, 5, 5, 5, 5, 5]
	;;#ASMEND
	;;#ASMSTART
	
 v_dot2c_f32_f16_dpp v66, v115, v143 dpp8:[6, 6, 6, 6, 6, 6, 6, 6]
	;;#ASMEND
	;;#ASMSTART
	
 v_dot2c_f32_f16_dpp v78, v115, v143 dpp8:[7, 7, 7, 7, 7, 7, 7, 7]
	;;#ASMEND
	;;#ASMSTART
	
 v_dot2c_f32_f16_dpp v53, v116, v144 dpp8:[0, 0, 0, 0, 0, 0, 0, 0]
	;;#ASMEND
	;;#ASMSTART
	
 v_dot2c_f32_f16_dpp v54, v116, v144 dpp8:[1, 1, 1, 1, 1, 1, 1, 1]
	;;#ASMEND
	;;#ASMSTART
	
 v_dot2c_f32_f16_dpp v57, v116, v144 dpp8:[2, 2, 2, 2, 2, 2, 2, 2]
	;;#ASMEND
	;;#ASMSTART
	
 v_dot2c_f32_f16_dpp v58, v116, v144 dpp8:[3, 3, 3, 3, 3, 3, 3, 3]
	;;#ASMEND
	;;#ASMSTART
	
 v_dot2c_f32_f16_dpp v61, v116, v144 dpp8:[4, 4, 4, 4, 4, 4, 4, 4]
	;;#ASMEND
	;;#ASMSTART
	
 v_dot2c_f32_f16_dpp v63, v116, v144 dpp8:[5, 5, 5, 5, 5, 5, 5, 5]
	;;#ASMEND
	;;#ASMSTART
	
 v_dot2c_f32_f16_dpp v66, v116, v144 dpp8:[6, 6, 6, 6, 6, 6, 6, 6]
	;;#ASMEND
	;;#ASMSTART
	
 v_dot2c_f32_f16_dpp v78, v116, v144 dpp8:[7, 7, 7, 7, 7, 7, 7, 7]
	;;#ASMEND
	s_waitcnt lgkmcnt(6)
	;;#ASMSTART
	
 v_dot2c_f32_f16_dpp v53, v117, v145 dpp8:[0, 0, 0, 0, 0, 0, 0, 0]
	;;#ASMEND
	;;#ASMSTART
	
 v_dot2c_f32_f16_dpp v54, v117, v145 dpp8:[1, 1, 1, 1, 1, 1, 1, 1]
	;;#ASMEND
	;; [unrolled: 4-line block ×16, first 2 shown]
	s_waitcnt lgkmcnt(5)
	;;#ASMSTART
	
 v_dot2c_f32_f16_dpp v53, v119, v147 dpp8:[0, 0, 0, 0, 0, 0, 0, 0]
	;;#ASMEND
	;;#ASMSTART
	
 v_dot2c_f32_f16_dpp v54, v119, v147 dpp8:[1, 1, 1, 1, 1, 1, 1, 1]
	;;#ASMEND
	;;#ASMSTART
	
 v_dot2c_f32_f16_dpp v57, v119, v147 dpp8:[2, 2, 2, 2, 2, 2, 2, 2]
	;;#ASMEND
	;;#ASMSTART
	
 v_dot2c_f32_f16_dpp v58, v119, v147 dpp8:[3, 3, 3, 3, 3, 3, 3, 3]
	;;#ASMEND
	;;#ASMSTART
	
 v_dot2c_f32_f16_dpp v61, v119, v147 dpp8:[4, 4, 4, 4, 4, 4, 4, 4]
	;;#ASMEND
	;;#ASMSTART
	
 v_dot2c_f32_f16_dpp v63, v119, v147 dpp8:[5, 5, 5, 5, 5, 5, 5, 5]
	;;#ASMEND
	;;#ASMSTART
	
 v_dot2c_f32_f16_dpp v66, v119, v147 dpp8:[6, 6, 6, 6, 6, 6, 6, 6]
	;;#ASMEND
	;;#ASMSTART
	
 v_dot2c_f32_f16_dpp v78, v119, v147 dpp8:[7, 7, 7, 7, 7, 7, 7, 7]
	;;#ASMEND
	;;#ASMSTART
	
 v_dot2c_f32_f16_dpp v53, v120, v148 dpp8:[0, 0, 0, 0, 0, 0, 0, 0]
	;;#ASMEND
	;;#ASMSTART
	
 v_dot2c_f32_f16_dpp v54, v120, v148 dpp8:[1, 1, 1, 1, 1, 1, 1, 1]
	;;#ASMEND
	;;#ASMSTART
	
 v_dot2c_f32_f16_dpp v57, v120, v148 dpp8:[2, 2, 2, 2, 2, 2, 2, 2]
	;;#ASMEND
	;;#ASMSTART
	
 v_dot2c_f32_f16_dpp v58, v120, v148 dpp8:[3, 3, 3, 3, 3, 3, 3, 3]
	;;#ASMEND
	;;#ASMSTART
	
 v_dot2c_f32_f16_dpp v61, v120, v148 dpp8:[4, 4, 4, 4, 4, 4, 4, 4]
	;;#ASMEND
	;;#ASMSTART
	
 v_dot2c_f32_f16_dpp v63, v120, v148 dpp8:[5, 5, 5, 5, 5, 5, 5, 5]
	;;#ASMEND
	;;#ASMSTART
	
 v_dot2c_f32_f16_dpp v66, v120, v148 dpp8:[6, 6, 6, 6, 6, 6, 6, 6]
	;;#ASMEND
	;;#ASMSTART
	
 v_dot2c_f32_f16_dpp v78, v120, v148 dpp8:[7, 7, 7, 7, 7, 7, 7, 7]
	;;#ASMEND
	s_waitcnt lgkmcnt(4)
	;;#ASMSTART
	
 v_dot2c_f32_f16_dpp v53, v121, v149 dpp8:[0, 0, 0, 0, 0, 0, 0, 0]
	;;#ASMEND
	;;#ASMSTART
	
 v_dot2c_f32_f16_dpp v54, v121, v149 dpp8:[1, 1, 1, 1, 1, 1, 1, 1]
	;;#ASMEND
	;; [unrolled: 4-line block ×16, first 2 shown]
	s_waitcnt lgkmcnt(3)
	;;#ASMSTART
	
 v_dot2c_f32_f16_dpp v53, v123, v151 dpp8:[0, 0, 0, 0, 0, 0, 0, 0]
	;;#ASMEND
	;;#ASMSTART
	
 v_dot2c_f32_f16_dpp v54, v123, v151 dpp8:[1, 1, 1, 1, 1, 1, 1, 1]
	;;#ASMEND
	;; [unrolled: 4-line block ×16, first 2 shown]
	s_waitcnt lgkmcnt(2)
	;;#ASMSTART
	
 v_dot2c_f32_f16_dpp v53, v125, v153 dpp8:[0, 0, 0, 0, 0, 0, 0, 0]
	;;#ASMEND
	;;#ASMSTART
	
 v_dot2c_f32_f16_dpp v54, v125, v153 dpp8:[1, 1, 1, 1, 1, 1, 1, 1]
	;;#ASMEND
	;;#ASMSTART
	
 v_dot2c_f32_f16_dpp v57, v125, v153 dpp8:[2, 2, 2, 2, 2, 2, 2, 2]
	;;#ASMEND
	;;#ASMSTART
	
 v_dot2c_f32_f16_dpp v58, v125, v153 dpp8:[3, 3, 3, 3, 3, 3, 3, 3]
	;;#ASMEND
	;;#ASMSTART
	
 v_dot2c_f32_f16_dpp v61, v125, v153 dpp8:[4, 4, 4, 4, 4, 4, 4, 4]
	;;#ASMEND
	;;#ASMSTART
	
 v_dot2c_f32_f16_dpp v63, v125, v153 dpp8:[5, 5, 5, 5, 5, 5, 5, 5]
	;;#ASMEND
	;;#ASMSTART
	
 v_dot2c_f32_f16_dpp v66, v125, v153 dpp8:[6, 6, 6, 6, 6, 6, 6, 6]
	;;#ASMEND
	;;#ASMSTART
	
 v_dot2c_f32_f16_dpp v78, v125, v153 dpp8:[7, 7, 7, 7, 7, 7, 7, 7]
	;;#ASMEND
	s_waitcnt vmcnt(7)
	v_cndmask_b32_e64 v32, 0, v32, s2
	v_cndmask_b32_e64 v31, 0, v31, s2
	;; [unrolled: 1-line block ×4, first 2 shown]
	;;#ASMSTART
	
 v_dot2c_f32_f16_dpp v53, v126, v154 dpp8:[0, 0, 0, 0, 0, 0, 0, 0]
	;;#ASMEND
	;;#ASMSTART
	
 v_dot2c_f32_f16_dpp v54, v126, v154 dpp8:[1, 1, 1, 1, 1, 1, 1, 1]
	;;#ASMEND
	;; [unrolled: 4-line block ×8, first 2 shown]
	s_waitcnt vmcnt(6)
	v_cndmask_b32_e64 v16, 0, v16, s1
	v_cndmask_b32_e64 v15, 0, v15, s1
	;; [unrolled: 1-line block ×4, first 2 shown]
	s_waitcnt lgkmcnt(1)
	;;#ASMSTART
	
 v_dot2c_f32_f16_dpp v53, v33, v155 dpp8:[0, 0, 0, 0, 0, 0, 0, 0]
	;;#ASMEND
	;;#ASMSTART
	
 v_dot2c_f32_f16_dpp v54, v33, v155 dpp8:[1, 1, 1, 1, 1, 1, 1, 1]
	;;#ASMEND
	;; [unrolled: 4-line block ×16, first 2 shown]
	s_waitcnt vmcnt(5)
	v_cndmask_b32_e64 v8, 0, v8, s1
	v_cndmask_b32_e64 v7, 0, v7, s1
	;; [unrolled: 1-line block ×4, first 2 shown]
	s_waitcnt lgkmcnt(0)
	;;#ASMSTART
	
 v_dot2c_f32_f16_dpp v53, v35, v157 dpp8:[0, 0, 0, 0, 0, 0, 0, 0]
	;;#ASMEND
	;;#ASMSTART
	
 v_dot2c_f32_f16_dpp v54, v35, v157 dpp8:[1, 1, 1, 1, 1, 1, 1, 1]
	;;#ASMEND
	;;#ASMSTART
	
 v_dot2c_f32_f16_dpp v57, v35, v157 dpp8:[2, 2, 2, 2, 2, 2, 2, 2]
	;;#ASMEND
	;;#ASMSTART
	
 v_dot2c_f32_f16_dpp v58, v35, v157 dpp8:[3, 3, 3, 3, 3, 3, 3, 3]
	;;#ASMEND
	;;#ASMSTART
	
 v_dot2c_f32_f16_dpp v61, v35, v157 dpp8:[4, 4, 4, 4, 4, 4, 4, 4]
	;;#ASMEND
	;;#ASMSTART
	
 v_dot2c_f32_f16_dpp v63, v35, v157 dpp8:[5, 5, 5, 5, 5, 5, 5, 5]
	;;#ASMEND
	;;#ASMSTART
	
 v_dot2c_f32_f16_dpp v66, v35, v157 dpp8:[6, 6, 6, 6, 6, 6, 6, 6]
	;;#ASMEND
	;;#ASMSTART
	
 v_dot2c_f32_f16_dpp v78, v35, v157 dpp8:[7, 7, 7, 7, 7, 7, 7, 7]
	;;#ASMEND
	s_waitcnt vmcnt(4)
	v_cndmask_b32_e64 v4, 0, v4, s2
	v_cndmask_b32_e64 v3, 0, v3, s2
	;; [unrolled: 1-line block ×4, first 2 shown]
	;;#ASMSTART
	
 v_dot2c_f32_f16_dpp v53, v36, v158 dpp8:[0, 0, 0, 0, 0, 0, 0, 0]
	;;#ASMEND
	;;#ASMSTART
	
 v_dot2c_f32_f16_dpp v54, v36, v158 dpp8:[1, 1, 1, 1, 1, 1, 1, 1]
	;;#ASMEND
	;; [unrolled: 4-line block ×8, first 2 shown]
	s_waitcnt lgkmcnt(0)
	s_barrier
	ds_write_b128 v39, v[29:32] offset:1056
	ds_write_b128 v39, v[13:16] offset:1040
	s_waitcnt vmcnt(2)
	v_cndmask_b32_e32 v13, 0, v19, vcc_lo
	s_waitcnt vmcnt(0)
	v_cndmask_b32_e64 v14, 0, v23, s0
	v_cndmask_b32_e32 v15, 0, v17, vcc_lo
	v_cndmask_b32_e64 v16, 0, v21, s0
	s_cmp_lg_u32 s17, 0
	v_cndmask_b32_e32 v29, 0, v27, vcc_lo
	v_cndmask_b32_e64 v30, 0, v11, s0
	v_cndmask_b32_e32 v31, 0, v25, vcc_lo
	v_cndmask_b32_e64 v32, 0, v9, s0
	v_cndmask_b32_e32 v17, 0, v18, vcc_lo
	v_cndmask_b32_e32 v18, 0, v20, vcc_lo
	v_cndmask_b32_e64 v19, 0, v24, s0
	v_cndmask_b32_e32 v9, 0, v26, vcc_lo
	v_cndmask_b32_e32 v11, 0, v28, vcc_lo
	v_cndmask_b32_e64 v20, 0, v22, s0
	v_cndmask_b32_e64 v12, 0, v12, s0
	;; [unrolled: 1-line block ×3, first 2 shown]
	ds_write_b128 v39, v[5:8]
	ds_write_b128 v39, v[1:4] offset:16
	ds_write2_b64 v94, v[15:16], v[13:14] offset0:144 offset1:209
	ds_write2_b64 v94, v[31:32], v[29:30] offset0:14 offset1:79
	ds_write2_b32 v93, v18, v19 offset1:1
	ds_write2_b32 v92, v17, v20 offset1:1
	;; [unrolled: 1-line block ×4, first 2 shown]
	s_cbranch_scc1 .LBB1_1
; %bb.2:
	v_add_nc_u32_e32 v87, 0x2000, v86
	v_add_nc_u32_e32 v88, 0x2400, v86
	s_waitcnt lgkmcnt(0)
	s_barrier
	ds_read_b128 v[29:32], v85
	ds_read_b128 v[25:28], v85 offset:1040
	ds_read_b128 v[21:24], v85 offset:2080
	;; [unrolled: 1-line block ×7, first 2 shown]
	ds_read2_b32 v[95:96], v87 offset0:28 offset1:93
	v_add_nc_u32_e32 v89, 0x2800, v86
	ds_read2_b32 v[97:98], v87 offset0:158 offset1:223
	ds_read2_b32 v[99:100], v88 offset0:32 offset1:97
	;; [unrolled: 1-line block ×4, first 2 shown]
	v_add_nc_u32_e32 v90, 0x2c00, v86
	ds_read2_b32 v[105:106], v89 offset0:166 offset1:231
	ds_read2_b32 v[107:108], v90 offset0:40 offset1:105
	;; [unrolled: 1-line block ×3, first 2 shown]
	v_add_nc_u32_e32 v91, 0x3000, v86
	v_add_nc_u32_e32 v92, 0x3400, v86
	;; [unrolled: 1-line block ×4, first 2 shown]
	s_lshl_b32 s3, s3, 5
	ds_read2_b32 v[48:49], v91 offset0:44 offset1:109
	ds_read2_b32 v[46:47], v91 offset0:174 offset1:239
	;; [unrolled: 1-line block ×8, first 2 shown]
	s_waitcnt lgkmcnt(15)
	;;#ASMSTART
	
 v_dot2c_f32_f16_dpp v83, v29, v95 dpp8:[0, 0, 0, 0, 0, 0, 0, 0]
	;;#ASMEND
	;;#ASMSTART
	
 v_dot2c_f32_f16_dpp v80, v29, v95 dpp8:[1, 1, 1, 1, 1, 1, 1, 1]
	;;#ASMEND
	;; [unrolled: 4-line block ×16, first 2 shown]
	s_waitcnt lgkmcnt(14)
	;;#ASMSTART
	
 v_dot2c_f32_f16_dpp v83, v31, v97 dpp8:[0, 0, 0, 0, 0, 0, 0, 0]
	;;#ASMEND
	;;#ASMSTART
	
 v_dot2c_f32_f16_dpp v80, v31, v97 dpp8:[1, 1, 1, 1, 1, 1, 1, 1]
	;;#ASMEND
	;; [unrolled: 4-line block ×16, first 2 shown]
	s_waitcnt lgkmcnt(13)
	;;#ASMSTART
	
 v_dot2c_f32_f16_dpp v83, v25, v99 dpp8:[0, 0, 0, 0, 0, 0, 0, 0]
	;;#ASMEND
	;;#ASMSTART
	
 v_dot2c_f32_f16_dpp v80, v25, v99 dpp8:[1, 1, 1, 1, 1, 1, 1, 1]
	;;#ASMEND
	;; [unrolled: 4-line block ×16, first 2 shown]
	s_waitcnt lgkmcnt(12)
	;;#ASMSTART
	
 v_dot2c_f32_f16_dpp v83, v27, v101 dpp8:[0, 0, 0, 0, 0, 0, 0, 0]
	;;#ASMEND
	;;#ASMSTART
	
 v_dot2c_f32_f16_dpp v80, v27, v101 dpp8:[1, 1, 1, 1, 1, 1, 1, 1]
	;;#ASMEND
	;; [unrolled: 4-line block ×16, first 2 shown]
	s_waitcnt lgkmcnt(11)
	;;#ASMSTART
	
 v_dot2c_f32_f16_dpp v83, v21, v103 dpp8:[0, 0, 0, 0, 0, 0, 0, 0]
	;;#ASMEND
	;;#ASMSTART
	
 v_dot2c_f32_f16_dpp v80, v21, v103 dpp8:[1, 1, 1, 1, 1, 1, 1, 1]
	;;#ASMEND
	;; [unrolled: 4-line block ×16, first 2 shown]
	s_waitcnt lgkmcnt(10)
	;;#ASMSTART
	
 v_dot2c_f32_f16_dpp v83, v23, v105 dpp8:[0, 0, 0, 0, 0, 0, 0, 0]
	;;#ASMEND
	;;#ASMSTART
	
 v_dot2c_f32_f16_dpp v80, v23, v105 dpp8:[1, 1, 1, 1, 1, 1, 1, 1]
	;;#ASMEND
	;; [unrolled: 4-line block ×16, first 2 shown]
	s_waitcnt lgkmcnt(9)
	;;#ASMSTART
	
 v_dot2c_f32_f16_dpp v83, v17, v107 dpp8:[0, 0, 0, 0, 0, 0, 0, 0]
	;;#ASMEND
	;;#ASMSTART
	
 v_dot2c_f32_f16_dpp v80, v17, v107 dpp8:[1, 1, 1, 1, 1, 1, 1, 1]
	;;#ASMEND
	;; [unrolled: 4-line block ×16, first 2 shown]
	s_waitcnt lgkmcnt(8)
	;;#ASMSTART
	
 v_dot2c_f32_f16_dpp v83, v19, v50 dpp8:[0, 0, 0, 0, 0, 0, 0, 0]
	;;#ASMEND
	;;#ASMSTART
	
 v_dot2c_f32_f16_dpp v80, v19, v50 dpp8:[1, 1, 1, 1, 1, 1, 1, 1]
	;;#ASMEND
	;; [unrolled: 4-line block ×16, first 2 shown]
	s_waitcnt lgkmcnt(7)
	;;#ASMSTART
	
 v_dot2c_f32_f16_dpp v83, v13, v48 dpp8:[0, 0, 0, 0, 0, 0, 0, 0]
	;;#ASMEND
	;;#ASMSTART
	
 v_dot2c_f32_f16_dpp v80, v13, v48 dpp8:[1, 1, 1, 1, 1, 1, 1, 1]
	;;#ASMEND
	;; [unrolled: 4-line block ×16, first 2 shown]
	s_waitcnt lgkmcnt(6)
	;;#ASMSTART
	
 v_dot2c_f32_f16_dpp v83, v15, v46 dpp8:[0, 0, 0, 0, 0, 0, 0, 0]
	;;#ASMEND
	;;#ASMSTART
	
 v_dot2c_f32_f16_dpp v80, v15, v46 dpp8:[1, 1, 1, 1, 1, 1, 1, 1]
	;;#ASMEND
	;; [unrolled: 4-line block ×16, first 2 shown]
	s_waitcnt lgkmcnt(5)
	;;#ASMSTART
	
 v_dot2c_f32_f16_dpp v83, v9, v44 dpp8:[0, 0, 0, 0, 0, 0, 0, 0]
	;;#ASMEND
	;;#ASMSTART
	
 v_dot2c_f32_f16_dpp v80, v9, v44 dpp8:[1, 1, 1, 1, 1, 1, 1, 1]
	;;#ASMEND
	;; [unrolled: 4-line block ×16, first 2 shown]
	s_waitcnt lgkmcnt(4)
	;;#ASMSTART
	
 v_dot2c_f32_f16_dpp v83, v11, v42 dpp8:[0, 0, 0, 0, 0, 0, 0, 0]
	;;#ASMEND
	;;#ASMSTART
	
 v_dot2c_f32_f16_dpp v80, v11, v42 dpp8:[1, 1, 1, 1, 1, 1, 1, 1]
	;;#ASMEND
	;; [unrolled: 4-line block ×16, first 2 shown]
	s_waitcnt lgkmcnt(3)
	;;#ASMSTART
	
 v_dot2c_f32_f16_dpp v83, v5, v40 dpp8:[0, 0, 0, 0, 0, 0, 0, 0]
	;;#ASMEND
	;;#ASMSTART
	
 v_dot2c_f32_f16_dpp v80, v5, v40 dpp8:[1, 1, 1, 1, 1, 1, 1, 1]
	;;#ASMEND
	;; [unrolled: 4-line block ×16, first 2 shown]
	s_waitcnt lgkmcnt(2)
	;;#ASMSTART
	
 v_dot2c_f32_f16_dpp v83, v7, v38 dpp8:[0, 0, 0, 0, 0, 0, 0, 0]
	;;#ASMEND
	;;#ASMSTART
	
 v_dot2c_f32_f16_dpp v80, v7, v38 dpp8:[1, 1, 1, 1, 1, 1, 1, 1]
	;;#ASMEND
	;; [unrolled: 4-line block ×16, first 2 shown]
	s_waitcnt lgkmcnt(1)
	;;#ASMSTART
	
 v_dot2c_f32_f16_dpp v83, v1, v35 dpp8:[0, 0, 0, 0, 0, 0, 0, 0]
	;;#ASMEND
	;;#ASMSTART
	
 v_dot2c_f32_f16_dpp v80, v1, v35 dpp8:[1, 1, 1, 1, 1, 1, 1, 1]
	;;#ASMEND
	;; [unrolled: 4-line block ×16, first 2 shown]
	s_waitcnt lgkmcnt(0)
	;;#ASMSTART
	
 v_dot2c_f32_f16_dpp v83, v3, v33 dpp8:[0, 0, 0, 0, 0, 0, 0, 0]
	;;#ASMEND
	;;#ASMSTART
	
 v_dot2c_f32_f16_dpp v80, v3, v33 dpp8:[1, 1, 1, 1, 1, 1, 1, 1]
	;;#ASMEND
	;; [unrolled: 4-line block ×16, first 2 shown]
	v_add_nc_u32_e32 v95, 0x2600, v86
	ds_read2_b32 v[101:102], v87 offset0:60 offset1:125
	ds_read2_b32 v[103:104], v87 offset0:190 offset1:255
	v_add_nc_u32_e32 v96, 0x2a00, v86
	ds_read2_b32 v[105:106], v88 offset0:64 offset1:129
	ds_read2_b32 v[107:108], v95 offset0:66 offset1:131
	;; [unrolled: 1-line block ×4, first 2 shown]
	v_add_nc_u32_e32 v97, 0x2e00, v86
	ds_read2_b32 v[113:114], v90 offset0:72 offset1:137
	ds_read2_b32 v[50:51], v97 offset0:74 offset1:139
	;; [unrolled: 1-line block ×3, first 2 shown]
	v_add_nc_u32_e32 v98, 0x3200, v86
	v_add_nc_u32_e32 v99, 0x3600, v86
	;; [unrolled: 1-line block ×4, first 2 shown]
	ds_read2_b32 v[44:45], v92 offset0:80 offset1:145
	ds_read2_b32 v[46:47], v98 offset0:78 offset1:143
	;; [unrolled: 1-line block ×7, first 2 shown]
	s_waitcnt lgkmcnt(15)
	;;#ASMSTART
	
 v_dot2c_f32_f16_dpp v82, v29, v101 dpp8:[0, 0, 0, 0, 0, 0, 0, 0]
	;;#ASMEND
	;;#ASMSTART
	
 v_dot2c_f32_f16_dpp v81, v29, v101 dpp8:[1, 1, 1, 1, 1, 1, 1, 1]
	;;#ASMEND
	;; [unrolled: 4-line block ×16, first 2 shown]
	s_waitcnt lgkmcnt(14)
	;;#ASMSTART
	
 v_dot2c_f32_f16_dpp v82, v31, v103 dpp8:[0, 0, 0, 0, 0, 0, 0, 0]
	;;#ASMEND
	;;#ASMSTART
	
 v_dot2c_f32_f16_dpp v81, v31, v103 dpp8:[1, 1, 1, 1, 1, 1, 1, 1]
	;;#ASMEND
	;; [unrolled: 4-line block ×16, first 2 shown]
	s_waitcnt lgkmcnt(13)
	;;#ASMSTART
	
 v_dot2c_f32_f16_dpp v82, v25, v105 dpp8:[0, 0, 0, 0, 0, 0, 0, 0]
	;;#ASMEND
	;;#ASMSTART
	
 v_dot2c_f32_f16_dpp v81, v25, v105 dpp8:[1, 1, 1, 1, 1, 1, 1, 1]
	;;#ASMEND
	;; [unrolled: 4-line block ×16, first 2 shown]
	s_waitcnt lgkmcnt(12)
	;;#ASMSTART
	
 v_dot2c_f32_f16_dpp v82, v27, v107 dpp8:[0, 0, 0, 0, 0, 0, 0, 0]
	;;#ASMEND
	;;#ASMSTART
	
 v_dot2c_f32_f16_dpp v81, v27, v107 dpp8:[1, 1, 1, 1, 1, 1, 1, 1]
	;;#ASMEND
	;; [unrolled: 4-line block ×16, first 2 shown]
	s_waitcnt lgkmcnt(11)
	;;#ASMSTART
	
 v_dot2c_f32_f16_dpp v82, v21, v109 dpp8:[0, 0, 0, 0, 0, 0, 0, 0]
	;;#ASMEND
	;;#ASMSTART
	
 v_dot2c_f32_f16_dpp v81, v21, v109 dpp8:[1, 1, 1, 1, 1, 1, 1, 1]
	;;#ASMEND
	;; [unrolled: 4-line block ×16, first 2 shown]
	s_waitcnt lgkmcnt(10)
	;;#ASMSTART
	
 v_dot2c_f32_f16_dpp v82, v23, v111 dpp8:[0, 0, 0, 0, 0, 0, 0, 0]
	;;#ASMEND
	;;#ASMSTART
	
 v_dot2c_f32_f16_dpp v81, v23, v111 dpp8:[1, 1, 1, 1, 1, 1, 1, 1]
	;;#ASMEND
	;;#ASMSTART
	
 v_dot2c_f32_f16_dpp v77, v23, v111 dpp8:[2, 2, 2, 2, 2, 2, 2, 2]
	;;#ASMEND
	;;#ASMSTART
	
 v_dot2c_f32_f16_dpp v76, v23, v111 dpp8:[3, 3, 3, 3, 3, 3, 3, 3]
	;;#ASMEND
	;;#ASMSTART
	
 v_dot2c_f32_f16_dpp v72, v23, v111 dpp8:[4, 4, 4, 4, 4, 4, 4, 4]
	;;#ASMEND
	;;#ASMSTART
	
 v_dot2c_f32_f16_dpp v73, v23, v111 dpp8:[5, 5, 5, 5, 5, 5, 5, 5]
	;;#ASMEND
	;;#ASMSTART
	
 v_dot2c_f32_f16_dpp v68, v23, v111 dpp8:[6, 6, 6, 6, 6, 6, 6, 6]
	;;#ASMEND
	;;#ASMSTART
	
 v_dot2c_f32_f16_dpp v70, v23, v111 dpp8:[7, 7, 7, 7, 7, 7, 7, 7]
	;;#ASMEND
	;;#ASMSTART
	
 v_dot2c_f32_f16_dpp v82, v24, v112 dpp8:[0, 0, 0, 0, 0, 0, 0, 0]
	;;#ASMEND
	;;#ASMSTART
	
 v_dot2c_f32_f16_dpp v81, v24, v112 dpp8:[1, 1, 1, 1, 1, 1, 1, 1]
	;;#ASMEND
	;;#ASMSTART
	
 v_dot2c_f32_f16_dpp v77, v24, v112 dpp8:[2, 2, 2, 2, 2, 2, 2, 2]
	;;#ASMEND
	;;#ASMSTART
	
 v_dot2c_f32_f16_dpp v76, v24, v112 dpp8:[3, 3, 3, 3, 3, 3, 3, 3]
	;;#ASMEND
	;;#ASMSTART
	
 v_dot2c_f32_f16_dpp v72, v24, v112 dpp8:[4, 4, 4, 4, 4, 4, 4, 4]
	;;#ASMEND
	;;#ASMSTART
	
 v_dot2c_f32_f16_dpp v73, v24, v112 dpp8:[5, 5, 5, 5, 5, 5, 5, 5]
	;;#ASMEND
	;;#ASMSTART
	
 v_dot2c_f32_f16_dpp v68, v24, v112 dpp8:[6, 6, 6, 6, 6, 6, 6, 6]
	;;#ASMEND
	;;#ASMSTART
	
 v_dot2c_f32_f16_dpp v70, v24, v112 dpp8:[7, 7, 7, 7, 7, 7, 7, 7]
	;;#ASMEND
	s_waitcnt lgkmcnt(9)
	;;#ASMSTART
	
 v_dot2c_f32_f16_dpp v82, v17, v113 dpp8:[0, 0, 0, 0, 0, 0, 0, 0]
	;;#ASMEND
	;;#ASMSTART
	
 v_dot2c_f32_f16_dpp v81, v17, v113 dpp8:[1, 1, 1, 1, 1, 1, 1, 1]
	;;#ASMEND
	;; [unrolled: 4-line block ×16, first 2 shown]
	s_waitcnt lgkmcnt(8)
	;;#ASMSTART
	
 v_dot2c_f32_f16_dpp v82, v19, v50 dpp8:[0, 0, 0, 0, 0, 0, 0, 0]
	;;#ASMEND
	;;#ASMSTART
	
 v_dot2c_f32_f16_dpp v81, v19, v50 dpp8:[1, 1, 1, 1, 1, 1, 1, 1]
	;;#ASMEND
	;; [unrolled: 4-line block ×16, first 2 shown]
	s_waitcnt lgkmcnt(7)
	;;#ASMSTART
	
 v_dot2c_f32_f16_dpp v82, v13, v48 dpp8:[0, 0, 0, 0, 0, 0, 0, 0]
	;;#ASMEND
	;;#ASMSTART
	
 v_dot2c_f32_f16_dpp v81, v13, v48 dpp8:[1, 1, 1, 1, 1, 1, 1, 1]
	;;#ASMEND
	;;#ASMSTART
	
 v_dot2c_f32_f16_dpp v77, v13, v48 dpp8:[2, 2, 2, 2, 2, 2, 2, 2]
	;;#ASMEND
	;;#ASMSTART
	
 v_dot2c_f32_f16_dpp v76, v13, v48 dpp8:[3, 3, 3, 3, 3, 3, 3, 3]
	;;#ASMEND
	;;#ASMSTART
	
 v_dot2c_f32_f16_dpp v72, v13, v48 dpp8:[4, 4, 4, 4, 4, 4, 4, 4]
	;;#ASMEND
	;;#ASMSTART
	
 v_dot2c_f32_f16_dpp v73, v13, v48 dpp8:[5, 5, 5, 5, 5, 5, 5, 5]
	;;#ASMEND
	;;#ASMSTART
	
 v_dot2c_f32_f16_dpp v68, v13, v48 dpp8:[6, 6, 6, 6, 6, 6, 6, 6]
	;;#ASMEND
	;;#ASMSTART
	
 v_dot2c_f32_f16_dpp v70, v13, v48 dpp8:[7, 7, 7, 7, 7, 7, 7, 7]
	;;#ASMEND
	;;#ASMSTART
	
 v_dot2c_f32_f16_dpp v82, v14, v49 dpp8:[0, 0, 0, 0, 0, 0, 0, 0]
	;;#ASMEND
	;;#ASMSTART
	
 v_dot2c_f32_f16_dpp v81, v14, v49 dpp8:[1, 1, 1, 1, 1, 1, 1, 1]
	;;#ASMEND
	;;#ASMSTART
	
 v_dot2c_f32_f16_dpp v77, v14, v49 dpp8:[2, 2, 2, 2, 2, 2, 2, 2]
	;;#ASMEND
	;;#ASMSTART
	
 v_dot2c_f32_f16_dpp v76, v14, v49 dpp8:[3, 3, 3, 3, 3, 3, 3, 3]
	;;#ASMEND
	;;#ASMSTART
	
 v_dot2c_f32_f16_dpp v72, v14, v49 dpp8:[4, 4, 4, 4, 4, 4, 4, 4]
	;;#ASMEND
	;;#ASMSTART
	
 v_dot2c_f32_f16_dpp v73, v14, v49 dpp8:[5, 5, 5, 5, 5, 5, 5, 5]
	;;#ASMEND
	;;#ASMSTART
	
 v_dot2c_f32_f16_dpp v68, v14, v49 dpp8:[6, 6, 6, 6, 6, 6, 6, 6]
	;;#ASMEND
	;;#ASMSTART
	
 v_dot2c_f32_f16_dpp v70, v14, v49 dpp8:[7, 7, 7, 7, 7, 7, 7, 7]
	;;#ASMEND
	s_waitcnt lgkmcnt(5)
	;;#ASMSTART
	
 v_dot2c_f32_f16_dpp v82, v15, v46 dpp8:[0, 0, 0, 0, 0, 0, 0, 0]
	;;#ASMEND
	;;#ASMSTART
	
 v_dot2c_f32_f16_dpp v81, v15, v46 dpp8:[1, 1, 1, 1, 1, 1, 1, 1]
	;;#ASMEND
	;; [unrolled: 4-line block ×32, first 2 shown]
	s_waitcnt lgkmcnt(4)
	;;#ASMSTART
	
 v_dot2c_f32_f16_dpp v82, v11, v42 dpp8:[0, 0, 0, 0, 0, 0, 0, 0]
	;;#ASMEND
	;;#ASMSTART
	
 v_dot2c_f32_f16_dpp v81, v11, v42 dpp8:[1, 1, 1, 1, 1, 1, 1, 1]
	;;#ASMEND
	;; [unrolled: 4-line block ×16, first 2 shown]
	s_waitcnt lgkmcnt(3)
	;;#ASMSTART
	
 v_dot2c_f32_f16_dpp v82, v5, v40 dpp8:[0, 0, 0, 0, 0, 0, 0, 0]
	;;#ASMEND
	;;#ASMSTART
	
 v_dot2c_f32_f16_dpp v81, v5, v40 dpp8:[1, 1, 1, 1, 1, 1, 1, 1]
	;;#ASMEND
	;; [unrolled: 4-line block ×16, first 2 shown]
	s_waitcnt lgkmcnt(2)
	;;#ASMSTART
	
 v_dot2c_f32_f16_dpp v82, v7, v38 dpp8:[0, 0, 0, 0, 0, 0, 0, 0]
	;;#ASMEND
	;;#ASMSTART
	
 v_dot2c_f32_f16_dpp v81, v7, v38 dpp8:[1, 1, 1, 1, 1, 1, 1, 1]
	;;#ASMEND
	;;#ASMSTART
	
 v_dot2c_f32_f16_dpp v77, v7, v38 dpp8:[2, 2, 2, 2, 2, 2, 2, 2]
	;;#ASMEND
	;;#ASMSTART
	
 v_dot2c_f32_f16_dpp v76, v7, v38 dpp8:[3, 3, 3, 3, 3, 3, 3, 3]
	;;#ASMEND
	;;#ASMSTART
	
 v_dot2c_f32_f16_dpp v72, v7, v38 dpp8:[4, 4, 4, 4, 4, 4, 4, 4]
	;;#ASMEND
	;;#ASMSTART
	
 v_dot2c_f32_f16_dpp v73, v7, v38 dpp8:[5, 5, 5, 5, 5, 5, 5, 5]
	;;#ASMEND
	;;#ASMSTART
	
 v_dot2c_f32_f16_dpp v68, v7, v38 dpp8:[6, 6, 6, 6, 6, 6, 6, 6]
	;;#ASMEND
	;;#ASMSTART
	
 v_dot2c_f32_f16_dpp v70, v7, v38 dpp8:[7, 7, 7, 7, 7, 7, 7, 7]
	;;#ASMEND
	;;#ASMSTART
	
 v_dot2c_f32_f16_dpp v82, v8, v39 dpp8:[0, 0, 0, 0, 0, 0, 0, 0]
	;;#ASMEND
	;;#ASMSTART
	
 v_dot2c_f32_f16_dpp v81, v8, v39 dpp8:[1, 1, 1, 1, 1, 1, 1, 1]
	;;#ASMEND
	;;#ASMSTART
	
 v_dot2c_f32_f16_dpp v77, v8, v39 dpp8:[2, 2, 2, 2, 2, 2, 2, 2]
	;;#ASMEND
	;;#ASMSTART
	
 v_dot2c_f32_f16_dpp v76, v8, v39 dpp8:[3, 3, 3, 3, 3, 3, 3, 3]
	;;#ASMEND
	;;#ASMSTART
	
 v_dot2c_f32_f16_dpp v72, v8, v39 dpp8:[4, 4, 4, 4, 4, 4, 4, 4]
	;;#ASMEND
	;;#ASMSTART
	
 v_dot2c_f32_f16_dpp v73, v8, v39 dpp8:[5, 5, 5, 5, 5, 5, 5, 5]
	;;#ASMEND
	;;#ASMSTART
	
 v_dot2c_f32_f16_dpp v68, v8, v39 dpp8:[6, 6, 6, 6, 6, 6, 6, 6]
	;;#ASMEND
	;;#ASMSTART
	
 v_dot2c_f32_f16_dpp v70, v8, v39 dpp8:[7, 7, 7, 7, 7, 7, 7, 7]
	;;#ASMEND
	s_waitcnt lgkmcnt(1)
	;;#ASMSTART
	
 v_dot2c_f32_f16_dpp v82, v1, v35 dpp8:[0, 0, 0, 0, 0, 0, 0, 0]
	;;#ASMEND
	;;#ASMSTART
	
 v_dot2c_f32_f16_dpp v81, v1, v35 dpp8:[1, 1, 1, 1, 1, 1, 1, 1]
	;;#ASMEND
	;; [unrolled: 4-line block ×16, first 2 shown]
	s_waitcnt lgkmcnt(0)
	;;#ASMSTART
	
 v_dot2c_f32_f16_dpp v82, v3, v33 dpp8:[0, 0, 0, 0, 0, 0, 0, 0]
	;;#ASMEND
	;;#ASMSTART
	
 v_dot2c_f32_f16_dpp v81, v3, v33 dpp8:[1, 1, 1, 1, 1, 1, 1, 1]
	;;#ASMEND
	;;#ASMSTART
	
 v_dot2c_f32_f16_dpp v77, v3, v33 dpp8:[2, 2, 2, 2, 2, 2, 2, 2]
	;;#ASMEND
	;;#ASMSTART
	
 v_dot2c_f32_f16_dpp v76, v3, v33 dpp8:[3, 3, 3, 3, 3, 3, 3, 3]
	;;#ASMEND
	;;#ASMSTART
	
 v_dot2c_f32_f16_dpp v72, v3, v33 dpp8:[4, 4, 4, 4, 4, 4, 4, 4]
	;;#ASMEND
	;;#ASMSTART
	
 v_dot2c_f32_f16_dpp v73, v3, v33 dpp8:[5, 5, 5, 5, 5, 5, 5, 5]
	;;#ASMEND
	;;#ASMSTART
	
 v_dot2c_f32_f16_dpp v68, v3, v33 dpp8:[6, 6, 6, 6, 6, 6, 6, 6]
	;;#ASMEND
	;;#ASMSTART
	
 v_dot2c_f32_f16_dpp v70, v3, v33 dpp8:[7, 7, 7, 7, 7, 7, 7, 7]
	;;#ASMEND
	;;#ASMSTART
	
 v_dot2c_f32_f16_dpp v82, v4, v34 dpp8:[0, 0, 0, 0, 0, 0, 0, 0]
	;;#ASMEND
	;;#ASMSTART
	
 v_dot2c_f32_f16_dpp v81, v4, v34 dpp8:[1, 1, 1, 1, 1, 1, 1, 1]
	;;#ASMEND
	;;#ASMSTART
	
 v_dot2c_f32_f16_dpp v77, v4, v34 dpp8:[2, 2, 2, 2, 2, 2, 2, 2]
	;;#ASMEND
	;;#ASMSTART
	
 v_dot2c_f32_f16_dpp v76, v4, v34 dpp8:[3, 3, 3, 3, 3, 3, 3, 3]
	;;#ASMEND
	;;#ASMSTART
	
 v_dot2c_f32_f16_dpp v72, v4, v34 dpp8:[4, 4, 4, 4, 4, 4, 4, 4]
	;;#ASMEND
	;;#ASMSTART
	
 v_dot2c_f32_f16_dpp v73, v4, v34 dpp8:[5, 5, 5, 5, 5, 5, 5, 5]
	;;#ASMEND
	;;#ASMSTART
	
 v_dot2c_f32_f16_dpp v68, v4, v34 dpp8:[6, 6, 6, 6, 6, 6, 6, 6]
	;;#ASMEND
	;;#ASMSTART
	
 v_dot2c_f32_f16_dpp v70, v4, v34 dpp8:[7, 7, 7, 7, 7, 7, 7, 7]
	;;#ASMEND
	ds_read_b128 v[29:32], v85 offset:512
	ds_read_b128 v[25:28], v85 offset:1552
	;; [unrolled: 1-line block ×4, first 2 shown]
	ds_read2_b32 v[101:102], v87 offset0:28 offset1:93
	ds_read_b128 v[13:16], v85 offset:4672
	ds_read_b128 v[9:12], v85 offset:5712
	;; [unrolled: 1-line block ×4, first 2 shown]
	ds_read2_b32 v[103:104], v87 offset0:158 offset1:223
	ds_read2_b32 v[105:106], v88 offset0:32 offset1:97
	;; [unrolled: 1-line block ×15, first 2 shown]
	s_waitcnt lgkmcnt(19)
	;;#ASMSTART
	
 v_dot2c_f32_f16_dpp v52, v29, v101 dpp8:[0, 0, 0, 0, 0, 0, 0, 0]
	;;#ASMEND
	;;#ASMSTART
	
 v_dot2c_f32_f16_dpp v55, v29, v101 dpp8:[1, 1, 1, 1, 1, 1, 1, 1]
	;;#ASMEND
	;; [unrolled: 4-line block ×16, first 2 shown]
	s_waitcnt lgkmcnt(14)
	;;#ASMSTART
	
 v_dot2c_f32_f16_dpp v52, v31, v103 dpp8:[0, 0, 0, 0, 0, 0, 0, 0]
	;;#ASMEND
	;;#ASMSTART
	
 v_dot2c_f32_f16_dpp v55, v31, v103 dpp8:[1, 1, 1, 1, 1, 1, 1, 1]
	;;#ASMEND
	;; [unrolled: 4-line block ×16, first 2 shown]
	s_waitcnt lgkmcnt(13)
	;;#ASMSTART
	
 v_dot2c_f32_f16_dpp v52, v25, v105 dpp8:[0, 0, 0, 0, 0, 0, 0, 0]
	;;#ASMEND
	;;#ASMSTART
	
 v_dot2c_f32_f16_dpp v55, v25, v105 dpp8:[1, 1, 1, 1, 1, 1, 1, 1]
	;;#ASMEND
	;; [unrolled: 4-line block ×16, first 2 shown]
	s_waitcnt lgkmcnt(12)
	;;#ASMSTART
	
 v_dot2c_f32_f16_dpp v52, v27, v107 dpp8:[0, 0, 0, 0, 0, 0, 0, 0]
	;;#ASMEND
	;;#ASMSTART
	
 v_dot2c_f32_f16_dpp v55, v27, v107 dpp8:[1, 1, 1, 1, 1, 1, 1, 1]
	;;#ASMEND
	;; [unrolled: 4-line block ×16, first 2 shown]
	s_waitcnt lgkmcnt(11)
	;;#ASMSTART
	
 v_dot2c_f32_f16_dpp v52, v21, v109 dpp8:[0, 0, 0, 0, 0, 0, 0, 0]
	;;#ASMEND
	;;#ASMSTART
	
 v_dot2c_f32_f16_dpp v55, v21, v109 dpp8:[1, 1, 1, 1, 1, 1, 1, 1]
	;;#ASMEND
	;; [unrolled: 4-line block ×16, first 2 shown]
	s_waitcnt lgkmcnt(10)
	;;#ASMSTART
	
 v_dot2c_f32_f16_dpp v52, v23, v111 dpp8:[0, 0, 0, 0, 0, 0, 0, 0]
	;;#ASMEND
	;;#ASMSTART
	
 v_dot2c_f32_f16_dpp v55, v23, v111 dpp8:[1, 1, 1, 1, 1, 1, 1, 1]
	;;#ASMEND
	;; [unrolled: 4-line block ×16, first 2 shown]
	s_waitcnt lgkmcnt(9)
	;;#ASMSTART
	
 v_dot2c_f32_f16_dpp v52, v17, v113 dpp8:[0, 0, 0, 0, 0, 0, 0, 0]
	;;#ASMEND
	;;#ASMSTART
	
 v_dot2c_f32_f16_dpp v55, v17, v113 dpp8:[1, 1, 1, 1, 1, 1, 1, 1]
	;;#ASMEND
	;; [unrolled: 4-line block ×16, first 2 shown]
	s_waitcnt lgkmcnt(8)
	;;#ASMSTART
	
 v_dot2c_f32_f16_dpp v52, v19, v50 dpp8:[0, 0, 0, 0, 0, 0, 0, 0]
	;;#ASMEND
	;;#ASMSTART
	
 v_dot2c_f32_f16_dpp v55, v19, v50 dpp8:[1, 1, 1, 1, 1, 1, 1, 1]
	;;#ASMEND
	;; [unrolled: 4-line block ×16, first 2 shown]
	s_waitcnt lgkmcnt(7)
	;;#ASMSTART
	
 v_dot2c_f32_f16_dpp v52, v13, v48 dpp8:[0, 0, 0, 0, 0, 0, 0, 0]
	;;#ASMEND
	;;#ASMSTART
	
 v_dot2c_f32_f16_dpp v55, v13, v48 dpp8:[1, 1, 1, 1, 1, 1, 1, 1]
	;;#ASMEND
	;; [unrolled: 4-line block ×16, first 2 shown]
	s_waitcnt lgkmcnt(6)
	;;#ASMSTART
	
 v_dot2c_f32_f16_dpp v52, v15, v46 dpp8:[0, 0, 0, 0, 0, 0, 0, 0]
	;;#ASMEND
	;;#ASMSTART
	
 v_dot2c_f32_f16_dpp v55, v15, v46 dpp8:[1, 1, 1, 1, 1, 1, 1, 1]
	;;#ASMEND
	;; [unrolled: 4-line block ×16, first 2 shown]
	s_waitcnt lgkmcnt(5)
	;;#ASMSTART
	
 v_dot2c_f32_f16_dpp v52, v9, v44 dpp8:[0, 0, 0, 0, 0, 0, 0, 0]
	;;#ASMEND
	;;#ASMSTART
	
 v_dot2c_f32_f16_dpp v55, v9, v44 dpp8:[1, 1, 1, 1, 1, 1, 1, 1]
	;;#ASMEND
	;; [unrolled: 4-line block ×16, first 2 shown]
	s_waitcnt lgkmcnt(4)
	;;#ASMSTART
	
 v_dot2c_f32_f16_dpp v52, v11, v42 dpp8:[0, 0, 0, 0, 0, 0, 0, 0]
	;;#ASMEND
	;;#ASMSTART
	
 v_dot2c_f32_f16_dpp v55, v11, v42 dpp8:[1, 1, 1, 1, 1, 1, 1, 1]
	;;#ASMEND
	;; [unrolled: 4-line block ×16, first 2 shown]
	s_waitcnt lgkmcnt(3)
	;;#ASMSTART
	
 v_dot2c_f32_f16_dpp v52, v5, v40 dpp8:[0, 0, 0, 0, 0, 0, 0, 0]
	;;#ASMEND
	;;#ASMSTART
	
 v_dot2c_f32_f16_dpp v55, v5, v40 dpp8:[1, 1, 1, 1, 1, 1, 1, 1]
	;;#ASMEND
	;; [unrolled: 4-line block ×16, first 2 shown]
	s_waitcnt lgkmcnt(2)
	;;#ASMSTART
	
 v_dot2c_f32_f16_dpp v52, v7, v38 dpp8:[0, 0, 0, 0, 0, 0, 0, 0]
	;;#ASMEND
	;;#ASMSTART
	
 v_dot2c_f32_f16_dpp v55, v7, v38 dpp8:[1, 1, 1, 1, 1, 1, 1, 1]
	;;#ASMEND
	;; [unrolled: 4-line block ×16, first 2 shown]
	s_waitcnt lgkmcnt(1)
	;;#ASMSTART
	
 v_dot2c_f32_f16_dpp v52, v1, v35 dpp8:[0, 0, 0, 0, 0, 0, 0, 0]
	;;#ASMEND
	;;#ASMSTART
	
 v_dot2c_f32_f16_dpp v55, v1, v35 dpp8:[1, 1, 1, 1, 1, 1, 1, 1]
	;;#ASMEND
	;; [unrolled: 4-line block ×16, first 2 shown]
	s_waitcnt lgkmcnt(0)
	;;#ASMSTART
	
 v_dot2c_f32_f16_dpp v52, v3, v33 dpp8:[0, 0, 0, 0, 0, 0, 0, 0]
	;;#ASMEND
	;;#ASMSTART
	
 v_dot2c_f32_f16_dpp v55, v3, v33 dpp8:[1, 1, 1, 1, 1, 1, 1, 1]
	;;#ASMEND
	;;#ASMSTART
	
 v_dot2c_f32_f16_dpp v56, v3, v33 dpp8:[2, 2, 2, 2, 2, 2, 2, 2]
	;;#ASMEND
	;;#ASMSTART
	
 v_dot2c_f32_f16_dpp v59, v3, v33 dpp8:[3, 3, 3, 3, 3, 3, 3, 3]
	;;#ASMEND
	;;#ASMSTART
	
 v_dot2c_f32_f16_dpp v60, v3, v33 dpp8:[4, 4, 4, 4, 4, 4, 4, 4]
	;;#ASMEND
	;;#ASMSTART
	
 v_dot2c_f32_f16_dpp v62, v3, v33 dpp8:[5, 5, 5, 5, 5, 5, 5, 5]
	;;#ASMEND
	;;#ASMSTART
	
 v_dot2c_f32_f16_dpp v64, v3, v33 dpp8:[6, 6, 6, 6, 6, 6, 6, 6]
	;;#ASMEND
	;;#ASMSTART
	
 v_dot2c_f32_f16_dpp v67, v3, v33 dpp8:[7, 7, 7, 7, 7, 7, 7, 7]
	;;#ASMEND
	;;#ASMSTART
	
 v_dot2c_f32_f16_dpp v52, v4, v34 dpp8:[0, 0, 0, 0, 0, 0, 0, 0]
	;;#ASMEND
	;;#ASMSTART
	
 v_dot2c_f32_f16_dpp v55, v4, v34 dpp8:[1, 1, 1, 1, 1, 1, 1, 1]
	;;#ASMEND
	;;#ASMSTART
	
 v_dot2c_f32_f16_dpp v56, v4, v34 dpp8:[2, 2, 2, 2, 2, 2, 2, 2]
	;;#ASMEND
	;;#ASMSTART
	
 v_dot2c_f32_f16_dpp v59, v4, v34 dpp8:[3, 3, 3, 3, 3, 3, 3, 3]
	;;#ASMEND
	;;#ASMSTART
	
 v_dot2c_f32_f16_dpp v60, v4, v34 dpp8:[4, 4, 4, 4, 4, 4, 4, 4]
	;;#ASMEND
	;;#ASMSTART
	
 v_dot2c_f32_f16_dpp v62, v4, v34 dpp8:[5, 5, 5, 5, 5, 5, 5, 5]
	;;#ASMEND
	;;#ASMSTART
	
 v_dot2c_f32_f16_dpp v64, v4, v34 dpp8:[6, 6, 6, 6, 6, 6, 6, 6]
	;;#ASMEND
	;;#ASMSTART
	
 v_dot2c_f32_f16_dpp v67, v4, v34 dpp8:[7, 7, 7, 7, 7, 7, 7, 7]
	;;#ASMEND
	ds_read2_b32 v[101:102], v87 offset0:60 offset1:125
	ds_read2_b32 v[103:104], v87 offset0:190 offset1:255
	ds_read2_b32 v[87:88], v88 offset0:64 offset1:129
	ds_read2_b32 v[105:106], v95 offset0:66 offset1:131
	ds_read2_b32 v[107:108], v89 offset0:68 offset1:133
	ds_read2_b32 v[95:96], v96 offset0:70 offset1:135
	ds_read2_b32 v[89:90], v90 offset0:72 offset1:137
	ds_read2_b32 v[50:51], v97 offset0:74 offset1:139
	ds_read2_b32 v[48:49], v91 offset0:76 offset1:141
	ds_read2_b32 v[46:47], v98 offset0:78 offset1:143
	ds_read2_b32 v[44:45], v92 offset0:80 offset1:145
	ds_read2_b32 v[42:43], v99 offset0:82 offset1:147
	ds_read2_b32 v[40:41], v93 offset0:84 offset1:149
	ds_read2_b32 v[38:39], v100 offset0:86 offset1:151
	ds_read2_b32 v[35:36], v94 offset0:88 offset1:153
	ds_read2_b32 v[33:34], v86 offset0:90 offset1:155
	s_waitcnt lgkmcnt(15)
	;;#ASMSTART
	
 v_dot2c_f32_f16_dpp v53, v29, v101 dpp8:[0, 0, 0, 0, 0, 0, 0, 0]
	;;#ASMEND
	;;#ASMSTART
	
 v_dot2c_f32_f16_dpp v54, v29, v101 dpp8:[1, 1, 1, 1, 1, 1, 1, 1]
	;;#ASMEND
	;; [unrolled: 4-line block ×16, first 2 shown]
	s_waitcnt lgkmcnt(14)
	;;#ASMSTART
	
 v_dot2c_f32_f16_dpp v53, v31, v103 dpp8:[0, 0, 0, 0, 0, 0, 0, 0]
	;;#ASMEND
	;;#ASMSTART
	
 v_dot2c_f32_f16_dpp v54, v31, v103 dpp8:[1, 1, 1, 1, 1, 1, 1, 1]
	;;#ASMEND
	;; [unrolled: 4-line block ×16, first 2 shown]
	s_waitcnt lgkmcnt(13)
	;;#ASMSTART
	
 v_dot2c_f32_f16_dpp v53, v25, v87 dpp8:[0, 0, 0, 0, 0, 0, 0, 0]
	;;#ASMEND
	;;#ASMSTART
	
 v_dot2c_f32_f16_dpp v54, v25, v87 dpp8:[1, 1, 1, 1, 1, 1, 1, 1]
	;;#ASMEND
	;; [unrolled: 4-line block ×16, first 2 shown]
	s_waitcnt lgkmcnt(12)
	;;#ASMSTART
	
 v_dot2c_f32_f16_dpp v53, v27, v105 dpp8:[0, 0, 0, 0, 0, 0, 0, 0]
	;;#ASMEND
	;;#ASMSTART
	
 v_dot2c_f32_f16_dpp v54, v27, v105 dpp8:[1, 1, 1, 1, 1, 1, 1, 1]
	;;#ASMEND
	;; [unrolled: 4-line block ×16, first 2 shown]
	s_waitcnt lgkmcnt(11)
	;;#ASMSTART
	
 v_dot2c_f32_f16_dpp v53, v21, v107 dpp8:[0, 0, 0, 0, 0, 0, 0, 0]
	;;#ASMEND
	;;#ASMSTART
	
 v_dot2c_f32_f16_dpp v54, v21, v107 dpp8:[1, 1, 1, 1, 1, 1, 1, 1]
	;;#ASMEND
	;; [unrolled: 4-line block ×16, first 2 shown]
	s_waitcnt lgkmcnt(10)
	;;#ASMSTART
	
 v_dot2c_f32_f16_dpp v53, v23, v95 dpp8:[0, 0, 0, 0, 0, 0, 0, 0]
	;;#ASMEND
	;;#ASMSTART
	
 v_dot2c_f32_f16_dpp v54, v23, v95 dpp8:[1, 1, 1, 1, 1, 1, 1, 1]
	;;#ASMEND
	;; [unrolled: 4-line block ×16, first 2 shown]
	s_waitcnt lgkmcnt(9)
	;;#ASMSTART
	
 v_dot2c_f32_f16_dpp v53, v17, v89 dpp8:[0, 0, 0, 0, 0, 0, 0, 0]
	;;#ASMEND
	;;#ASMSTART
	
 v_dot2c_f32_f16_dpp v54, v17, v89 dpp8:[1, 1, 1, 1, 1, 1, 1, 1]
	;;#ASMEND
	;; [unrolled: 4-line block ×16, first 2 shown]
	s_waitcnt lgkmcnt(8)
	;;#ASMSTART
	
 v_dot2c_f32_f16_dpp v53, v19, v50 dpp8:[0, 0, 0, 0, 0, 0, 0, 0]
	;;#ASMEND
	;;#ASMSTART
	
 v_dot2c_f32_f16_dpp v54, v19, v50 dpp8:[1, 1, 1, 1, 1, 1, 1, 1]
	;;#ASMEND
	;; [unrolled: 4-line block ×16, first 2 shown]
	s_waitcnt lgkmcnt(7)
	;;#ASMSTART
	
 v_dot2c_f32_f16_dpp v53, v13, v48 dpp8:[0, 0, 0, 0, 0, 0, 0, 0]
	;;#ASMEND
	;;#ASMSTART
	
 v_dot2c_f32_f16_dpp v54, v13, v48 dpp8:[1, 1, 1, 1, 1, 1, 1, 1]
	;;#ASMEND
	;; [unrolled: 4-line block ×16, first 2 shown]
	s_waitcnt lgkmcnt(6)
	;;#ASMSTART
	
 v_dot2c_f32_f16_dpp v53, v15, v46 dpp8:[0, 0, 0, 0, 0, 0, 0, 0]
	;;#ASMEND
	;;#ASMSTART
	
 v_dot2c_f32_f16_dpp v54, v15, v46 dpp8:[1, 1, 1, 1, 1, 1, 1, 1]
	;;#ASMEND
	;; [unrolled: 4-line block ×16, first 2 shown]
	s_waitcnt lgkmcnt(5)
	;;#ASMSTART
	
 v_dot2c_f32_f16_dpp v53, v9, v44 dpp8:[0, 0, 0, 0, 0, 0, 0, 0]
	;;#ASMEND
	;;#ASMSTART
	
 v_dot2c_f32_f16_dpp v54, v9, v44 dpp8:[1, 1, 1, 1, 1, 1, 1, 1]
	;;#ASMEND
	;; [unrolled: 4-line block ×16, first 2 shown]
	s_waitcnt lgkmcnt(4)
	;;#ASMSTART
	
 v_dot2c_f32_f16_dpp v53, v11, v42 dpp8:[0, 0, 0, 0, 0, 0, 0, 0]
	;;#ASMEND
	;;#ASMSTART
	
 v_dot2c_f32_f16_dpp v54, v11, v42 dpp8:[1, 1, 1, 1, 1, 1, 1, 1]
	;;#ASMEND
	;; [unrolled: 4-line block ×16, first 2 shown]
	s_waitcnt lgkmcnt(3)
	;;#ASMSTART
	
 v_dot2c_f32_f16_dpp v53, v5, v40 dpp8:[0, 0, 0, 0, 0, 0, 0, 0]
	;;#ASMEND
	;;#ASMSTART
	
 v_dot2c_f32_f16_dpp v54, v5, v40 dpp8:[1, 1, 1, 1, 1, 1, 1, 1]
	;;#ASMEND
	;; [unrolled: 4-line block ×16, first 2 shown]
	s_waitcnt lgkmcnt(2)
	;;#ASMSTART
	
 v_dot2c_f32_f16_dpp v53, v7, v38 dpp8:[0, 0, 0, 0, 0, 0, 0, 0]
	;;#ASMEND
	;;#ASMSTART
	
 v_dot2c_f32_f16_dpp v54, v7, v38 dpp8:[1, 1, 1, 1, 1, 1, 1, 1]
	;;#ASMEND
	;; [unrolled: 4-line block ×16, first 2 shown]
	s_waitcnt lgkmcnt(1)
	;;#ASMSTART
	
 v_dot2c_f32_f16_dpp v53, v1, v35 dpp8:[0, 0, 0, 0, 0, 0, 0, 0]
	;;#ASMEND
	;;#ASMSTART
	
 v_dot2c_f32_f16_dpp v54, v1, v35 dpp8:[1, 1, 1, 1, 1, 1, 1, 1]
	;;#ASMEND
	;; [unrolled: 4-line block ×8, first 2 shown]
	v_add_nc_u32_e32 v1, s30, v84
	;;#ASMSTART
	
 v_dot2c_f32_f16_dpp v53, v2, v36 dpp8:[0, 0, 0, 0, 0, 0, 0, 0]
	;;#ASMEND
	;;#ASMSTART
	
 v_dot2c_f32_f16_dpp v54, v2, v36 dpp8:[1, 1, 1, 1, 1, 1, 1, 1]
	;;#ASMEND
	;;#ASMSTART
	
 v_dot2c_f32_f16_dpp v57, v2, v36 dpp8:[2, 2, 2, 2, 2, 2, 2, 2]
	;;#ASMEND
	;;#ASMSTART
	
 v_dot2c_f32_f16_dpp v58, v2, v36 dpp8:[3, 3, 3, 3, 3, 3, 3, 3]
	;;#ASMEND
	v_lshrrev_b32_e32 v1, 5, v1
	;;#ASMSTART
	
 v_dot2c_f32_f16_dpp v61, v2, v36 dpp8:[4, 4, 4, 4, 4, 4, 4, 4]
	;;#ASMEND
	;;#ASMSTART
	
 v_dot2c_f32_f16_dpp v63, v2, v36 dpp8:[5, 5, 5, 5, 5, 5, 5, 5]
	;;#ASMEND
	;; [unrolled: 4-line block ×4, first 2 shown]
	s_waitcnt lgkmcnt(0)
	;;#ASMSTART
	
 v_dot2c_f32_f16_dpp v53, v3, v33 dpp8:[0, 0, 0, 0, 0, 0, 0, 0]
	;;#ASMEND
	;;#ASMSTART
	
 v_dot2c_f32_f16_dpp v54, v3, v33 dpp8:[1, 1, 1, 1, 1, 1, 1, 1]
	;;#ASMEND
	;; [unrolled: 4-line block ×8, first 2 shown]
	v_mul_lo_u32 v3, v1, s3
	s_mul_i32 s0, s31, s25
	s_mul_hi_u32 s1, 0, s25
	s_lshl_b32 s11, s16, 3
	s_add_i32 s0, s1, s0
	s_lshr_b32 s1, s10, 5
	s_add_u32 s0, s0, s9
	v_mad_u64_u32 v[1:2], null, s1, s11, v[37:38]
	v_and_or_b32 v0, v0, 24, v3
	;;#ASMSTART
	
 v_dot2c_f32_f16_dpp v53, v4, v34 dpp8:[0, 0, 0, 0, 0, 0, 0, 0]
	;;#ASMEND
	;;#ASMSTART
	
 v_dot2c_f32_f16_dpp v54, v4, v34 dpp8:[1, 1, 1, 1, 1, 1, 1, 1]
	;;#ASMEND
	;; [unrolled: 4-line block ×4, first 2 shown]
	v_cmp_gt_i32_e64 s1, s8, v0
	v_cmp_gt_i32_e32 vcc_lo, s9, v1
	v_mad_u64_u32 v[2:3], null, v0, s25, v[1:2]
	v_add_nc_u32_e32 v1, s11, v1
	;;#ASMSTART
	
 v_dot2c_f32_f16_dpp v61, v4, v34 dpp8:[4, 4, 4, 4, 4, 4, 4, 4]
	;;#ASMEND
	;;#ASMSTART
	
 v_dot2c_f32_f16_dpp v63, v4, v34 dpp8:[5, 5, 5, 5, 5, 5, 5, 5]
	;;#ASMEND
	;; [unrolled: 4-line block ×4, first 2 shown]
	v_or_b32_e32 v4, 1, v0
	s_lshl_b32 s6, s0, 1
	s_and_b32 s0, s1, vcc_lo
	v_cvt_f16_f32_e32 v3, v83
	v_cndmask_b32_e64 v5, 0x80000000, 0, s0
	v_cmp_gt_i32_e64 s0, s9, v1
	v_cmp_gt_i32_e64 s2, s8, v4
	v_add_nc_u32_e32 v1, s11, v2
	s_and_b32 s5, s19, 0xffff
	v_lshl_add_u32 v4, v2, 1, v5
	s_and_b32 s1, s1, s0
	s_mov_b32 s7, 0x31014000
	v_cndmask_b32_e64 v5, 0x80000000, 0, s1
	s_and_b32 s1, s2, s0
	v_add_nc_u32_e32 v6, s25, v1
	v_cndmask_b32_e64 v7, 0x80000000, 0, s1
	s_mov_b32 s4, s18
	v_lshl_add_u32 v1, v1, 1, v5
	buffer_store_short v3, v4, s[4:7], 0 offen
	v_cvt_f16_f32_e32 v3, v82
	v_lshl_add_u32 v5, v6, 1, v7
	v_or_b32_e32 v7, 2, v0
	s_and_b32 s1, vcc_lo, s2
	v_cvt_f16_f32_e32 v4, v81
	v_add_nc_u32_e32 v2, s25, v2
	v_cndmask_b32_e64 v8, 0x80000000, 0, s1
	v_cmp_gt_i32_e64 s1, s8, v7
	buffer_store_short v3, v1, s[4:7], 0 offen
	buffer_store_short v4, v5, s[4:7], 0 offen
	v_or_b32_e32 v4, 3, v0
	v_cvt_f16_f32_e32 v1, v80
	v_lshl_add_u32 v3, v2, 1, v8
	s_and_b32 s2, vcc_lo, s1
	v_add_nc_u32_e32 v2, s25, v2
	v_cndmask_b32_e64 v5, 0x80000000, 0, s2
	v_cmp_gt_i32_e64 s2, s8, v4
	buffer_store_short v1, v3, s[4:7], 0 offen
	v_add_nc_u32_e32 v3, s25, v6
	s_and_b32 s1, s1, s0
	v_or_b32_e32 v7, 4, v0
	v_cndmask_b32_e64 v4, 0x80000000, 0, s1
	s_and_b32 s1, s2, s0
	v_cvt_f16_f32_e32 v1, v79
	v_lshl_add_u32 v2, v2, 1, v5
	v_add_nc_u32_e32 v5, s25, v3
	v_cndmask_b32_e64 v6, 0x80000000, 0, s1
	s_and_b32 s1, vcc_lo, s2
	v_cvt_f16_f32_e32 v10, v70
	v_cndmask_b32_e64 v8, 0x80000000, 0, s1
	v_cmp_gt_i32_e64 s1, s8, v7
	buffer_store_short v1, v2, s[4:7], 0 offen
	v_cvt_f16_f32_e32 v1, v77
	v_lshl_add_u32 v2, v3, 1, v4
	v_lshl_add_u32 v4, v5, 1, v6
	v_subrev_nc_u32_e32 v6, s11, v5
	v_cvt_f16_f32_e32 v3, v76
	s_and_b32 s2, vcc_lo, s1
	buffer_store_short v1, v2, s[4:7], 0 offen
	buffer_store_short v3, v4, s[4:7], 0 offen
	v_cvt_f16_f32_e32 v1, v75
	v_lshl_add_u32 v2, v6, 1, v8
	v_add_nc_u32_e32 v3, s25, v6
	v_or_b32_e32 v4, 5, v0
	v_cndmask_b32_e64 v6, 0x80000000, 0, s2
	s_and_b32 s1, s1, s0
	buffer_store_short v1, v2, s[4:7], 0 offen
	v_cvt_f16_f32_e32 v1, v74
	v_add_nc_u32_e32 v2, s25, v5
	v_cmp_gt_i32_e64 s2, s8, v4
	v_lshl_add_u32 v3, v3, 1, v6
	v_cndmask_b32_e64 v4, 0x80000000, 0, s1
	v_add_nc_u32_e32 v5, s25, v2
	s_and_b32 s1, s2, s0
	buffer_store_short v1, v3, s[4:7], 0 offen
	v_cvt_f16_f32_e32 v1, v72
	v_lshl_add_u32 v2, v2, 1, v4
	v_cndmask_b32_e64 v6, 0x80000000, 0, s1
	s_and_b32 s1, vcc_lo, s2
	v_cvt_f16_f32_e32 v3, v73
	v_cndmask_b32_e64 v7, 0x80000000, 0, s1
	buffer_store_short v1, v2, s[4:7], 0 offen
	v_or_b32_e32 v1, 6, v0
	v_or_b32_e32 v0, 7, v0
	v_lshl_add_u32 v4, v5, 1, v6
	v_subrev_nc_u32_e32 v6, s11, v5
	v_add_nc_u32_e32 v5, s25, v5
	v_cmp_gt_i32_e64 s1, s8, v1
	v_cmp_gt_i32_e64 s2, s8, v0
	buffer_store_short v3, v4, s[4:7], 0 offen
	v_lshl_add_u32 v3, v6, 1, v7
	v_add_nc_u32_e32 v1, s25, v6
	s_and_b32 s9, vcc_lo, s1
	s_and_b32 s1, s1, s0
	v_cndmask_b32_e64 v6, 0x80000000, 0, s9
	v_add_nc_u32_e32 v0, s3, v0
	v_cndmask_b32_e64 v7, 0x80000000, 0, s1
	s_and_b32 s1, s2, s0
	v_cvt_f16_f32_e32 v2, v71
	v_add_nc_u32_e32 v8, s25, v5
	v_cvt_f16_f32_e32 v4, v69
	v_cndmask_b32_e64 v9, 0x80000000, 0, s1
	v_lshl_add_u32 v1, v1, 1, v6
	v_cmp_gt_i32_e64 s1, s8, v0
	v_cvt_f16_f32_e32 v6, v68
	v_lshl_add_u32 v7, v5, 1, v7
	buffer_store_short v2, v3, s[4:7], 0 offen
	buffer_store_short v4, v1, s[4:7], 0 offen
	v_subrev_nc_u32_e32 v1, s11, v8
	v_lshl_add_u32 v9, v8, 1, v9
	s_and_b32 s2, vcc_lo, s2
	s_mul_i32 s3, s3, s25
	v_cndmask_b32_e64 v3, 0x80000000, 0, s2
	s_and_b32 s2, vcc_lo, s1
	buffer_store_short v6, v7, s[4:7], 0 offen
	buffer_store_short v10, v9, s[4:7], 0 offen
	v_add_nc_u32_e32 v4, s3, v1
	v_cndmask_b32_e64 v6, 0x80000000, 0, s2
	s_and_b32 s1, s0, s1
	v_add_nc_u32_e32 v7, s3, v8
	v_cndmask_b32_e64 v8, 0x80000000, 0, s1
	v_cmp_ge_i32_e64 s1, s8, v0
	v_cvt_f16_f32_e32 v2, v65
	v_lshl_add_u32 v1, v1, 1, v3
	v_cvt_f16_f32_e32 v3, v67
	v_lshl_add_u32 v4, v4, 1, v6
	;; [unrolled: 2-line block ×3, first 2 shown]
	s_and_b32 s2, s0, s1
	buffer_store_short v2, v1, s[4:7], 0 offen
	buffer_store_short v3, v4, s[4:7], 0 offen
	v_add_nc_u32_e32 v1, s3, v5
	v_cndmask_b32_e64 v3, 0x80000000, 0, s2
	v_add_nc_u32_e32 v2, -1, v0
	buffer_store_short v6, v7, s[4:7], 0 offen
	s_and_b32 s1, vcc_lo, s1
	v_add_nc_u32_e32 v7, -2, v0
	v_subrev_nc_u32_e32 v4, s11, v1
	v_cndmask_b32_e64 v5, 0x80000000, 0, s1
	v_cvt_f16_f32_e32 v6, v66
	v_lshl_add_u32 v1, v1, 1, v3
	v_cmp_ge_i32_e64 s1, s8, v2
	v_cmp_gt_i32_e64 s2, s8, v7
	v_cvt_f16_f32_e32 v3, v64
	v_lshl_add_u32 v5, v4, 1, v5
	buffer_store_short v6, v1, s[4:7], 0 offen
	v_subrev_nc_u32_e32 v1, s25, v4
	s_and_b32 s1, vcc_lo, s1
	v_add_nc_u32_e32 v6, -3, v0
	v_cndmask_b32_e64 v2, 0x80000000, 0, s1
	s_and_b32 s1, s0, s2
	buffer_store_short v3, v5, s[4:7], 0 offen
	v_add_nc_u32_e32 v3, s11, v1
	v_cndmask_b32_e64 v4, 0x80000000, 0, s1
	v_cmp_ge_i32_e64 s1, s8, v7
	v_cvt_f16_f32_e32 v5, v62
	v_lshl_add_u32 v1, v1, 1, v2
	v_cvt_f16_f32_e32 v2, v63
	v_lshl_add_u32 v4, v3, 1, v4
	v_cmp_gt_i32_e64 s2, s8, v6
	s_and_b32 s1, s0, s1
	buffer_store_short v5, v1, s[4:7], 0 offen
	v_subrev_nc_u32_e32 v1, s25, v3
	buffer_store_short v2, v4, s[4:7], 0 offen
	v_cndmask_b32_e64 v2, 0x80000000, 0, s1
	s_and_b32 s1, vcc_lo, s2
	v_cvt_f16_f32_e32 v5, v61
	v_cndmask_b32_e64 v4, 0x80000000, 0, s1
	v_cmp_ge_i32_e64 s1, s8, v6
	v_subrev_nc_u32_e32 v3, s11, v1
	v_add_nc_u32_e32 v6, -4, v0
	v_lshl_add_u32 v1, v1, 1, v2
	v_cvt_f16_f32_e32 v2, v60
	s_and_b32 s1, vcc_lo, s1
	v_lshl_add_u32 v4, v3, 1, v4
	v_subrev_nc_u32_e32 v3, s25, v3
	v_cndmask_b32_e64 v7, 0x80000000, 0, s1
	v_cmp_gt_i32_e64 s1, s8, v6
	v_cmp_ge_i32_e64 s2, s8, v6
	buffer_store_short v5, v1, s[4:7], 0 offen
	buffer_store_short v2, v4, s[4:7], 0 offen
	v_add_nc_u32_e32 v8, -5, v0
	v_lshl_add_u32 v2, v3, 1, v7
	v_add_nc_u32_e32 v3, s11, v3
	s_and_b32 s1, s0, s1
	v_cvt_f16_f32_e32 v1, v59
	v_cndmask_b32_e64 v5, 0x80000000, 0, s1
	s_and_b32 s1, s0, s2
	v_subrev_nc_u32_e32 v6, s25, v3
	v_cndmask_b32_e64 v7, 0x80000000, 0, s1
	v_cmp_gt_i32_e64 s1, s8, v8
	v_cvt_f16_f32_e32 v4, v58
	v_lshl_add_u32 v3, v3, 1, v5
	buffer_store_short v1, v2, s[4:7], 0 offen
	v_cvt_f16_f32_e32 v1, v57
	v_lshl_add_u32 v2, v6, 1, v7
	v_cmp_ge_i32_e64 s2, s8, v8
	s_and_b32 s1, vcc_lo, s1
	buffer_store_short v4, v3, s[4:7], 0 offen
	v_subrev_nc_u32_e32 v3, s11, v6
	buffer_store_short v1, v2, s[4:7], 0 offen
	v_cndmask_b32_e64 v1, 0x80000000, 0, s1
	s_and_b32 s1, vcc_lo, s2
	v_cvt_f16_f32_e32 v5, v56
	v_subrev_nc_u32_e32 v2, s25, v3
	v_cndmask_b32_e64 v4, 0x80000000, 0, s1
	v_lshl_add_u32 v1, v3, 1, v1
	v_add_nc_u32_e32 v3, -6, v0
	v_add_nc_u32_e32 v0, -7, v0
	v_cvt_f16_f32_e32 v6, v55
	v_lshl_add_u32 v4, v2, 1, v4
	v_add_nc_u32_e32 v2, s11, v2
	v_cmp_gt_i32_e64 s1, s8, v3
	v_cmp_ge_i32_e64 s2, s8, v3
	v_cmp_gt_i32_e64 s3, s8, v0
	v_cvt_f16_f32_e32 v7, v54
	v_subrev_nc_u32_e32 v3, s25, v2
	s_and_b32 s1, s0, s1
	s_and_b32 s0, s0, s2
	v_cndmask_b32_e64 v0, 0x80000000, 0, s1
	v_cndmask_b32_e64 v8, 0x80000000, 0, s0
	s_and_b32 s0, vcc_lo, s3
	v_subrev_nc_u32_e32 v9, s11, v3
	v_cndmask_b32_e64 v10, 0x80000000, 0, s0
	v_lshl_add_u32 v0, v2, 1, v0
	v_cvt_f16_f32_e32 v2, v53
	v_lshl_add_u32 v3, v3, 1, v8
	v_cvt_f16_f32_e32 v8, v52
	v_lshl_add_u32 v9, v9, 1, v10
	buffer_store_short v5, v1, s[4:7], 0 offen
	buffer_store_short v6, v4, s[4:7], 0 offen
	;; [unrolled: 1-line block ×5, first 2 shown]
	s_endpgm
	.section	.rodata,"a",@progbits
	.p2align	6, 0x0
	.amdhsa_kernel _ZN2ck15kernel_gemm_dppINS_35GridwiseGemm_ak0mak1_bk0nbk1_mn_dppILi128EDF16_fDF16_LNS_25InMemoryDataOperationEnumE0ENS_13tensor_layout4gemm8RowMajorENS4_11ColumnMajorES5_NS_16tensor_operation12element_wise11PassThroughES9_S9_LNS7_6device18GemmSpecializationE4ELi64ELi64ELi64ELi32ELi8ELi8ELi2ELi2ELi2ENS_8SequenceIJLi4ELi32ELi1EEEENSC_IJLi1ELi0ELi2EEEESE_Li2ELi8ELi8ELb0ELb1ESD_SE_SE_Li2ELi2ELi2ELb0ELb1ENSC_IJLi0ELi2ELi4ELi1ELi3ELi5EEEELi5ELi1ELi1ELNS_15PipelineVersionE0EEELb1EEEvNT_8ArgumentE
		.amdhsa_group_segment_fixed_size 16624
		.amdhsa_private_segment_fixed_size 0
		.amdhsa_kernarg_size 80
		.amdhsa_user_sgpr_count 6
		.amdhsa_user_sgpr_private_segment_buffer 1
		.amdhsa_user_sgpr_dispatch_ptr 0
		.amdhsa_user_sgpr_queue_ptr 0
		.amdhsa_user_sgpr_kernarg_segment_ptr 1
		.amdhsa_user_sgpr_dispatch_id 0
		.amdhsa_user_sgpr_flat_scratch_init 0
		.amdhsa_user_sgpr_private_segment_size 0
		.amdhsa_wavefront_size32 1
		.amdhsa_uses_dynamic_stack 0
		.amdhsa_system_sgpr_private_segment_wavefront_offset 0
		.amdhsa_system_sgpr_workgroup_id_x 1
		.amdhsa_system_sgpr_workgroup_id_y 0
		.amdhsa_system_sgpr_workgroup_id_z 0
		.amdhsa_system_sgpr_workgroup_info 0
		.amdhsa_system_vgpr_workitem_id 0
		.amdhsa_next_free_vgpr 159
		.amdhsa_next_free_sgpr 32
		.amdhsa_reserve_vcc 1
		.amdhsa_reserve_flat_scratch 0
		.amdhsa_float_round_mode_32 0
		.amdhsa_float_round_mode_16_64 0
		.amdhsa_float_denorm_mode_32 3
		.amdhsa_float_denorm_mode_16_64 3
		.amdhsa_dx10_clamp 1
		.amdhsa_ieee_mode 1
		.amdhsa_fp16_overflow 0
		.amdhsa_workgroup_processor_mode 1
		.amdhsa_memory_ordered 1
		.amdhsa_forward_progress 1
		.amdhsa_shared_vgpr_count 0
		.amdhsa_exception_fp_ieee_invalid_op 0
		.amdhsa_exception_fp_denorm_src 0
		.amdhsa_exception_fp_ieee_div_zero 0
		.amdhsa_exception_fp_ieee_overflow 0
		.amdhsa_exception_fp_ieee_underflow 0
		.amdhsa_exception_fp_ieee_inexact 0
		.amdhsa_exception_int_div_zero 0
	.end_amdhsa_kernel
	.section	.text._ZN2ck15kernel_gemm_dppINS_35GridwiseGemm_ak0mak1_bk0nbk1_mn_dppILi128EDF16_fDF16_LNS_25InMemoryDataOperationEnumE0ENS_13tensor_layout4gemm8RowMajorENS4_11ColumnMajorES5_NS_16tensor_operation12element_wise11PassThroughES9_S9_LNS7_6device18GemmSpecializationE4ELi64ELi64ELi64ELi32ELi8ELi8ELi2ELi2ELi2ENS_8SequenceIJLi4ELi32ELi1EEEENSC_IJLi1ELi0ELi2EEEESE_Li2ELi8ELi8ELb0ELb1ESD_SE_SE_Li2ELi2ELi2ELb0ELb1ENSC_IJLi0ELi2ELi4ELi1ELi3ELi5EEEELi5ELi1ELi1ELNS_15PipelineVersionE0EEELb1EEEvNT_8ArgumentE,"axG",@progbits,_ZN2ck15kernel_gemm_dppINS_35GridwiseGemm_ak0mak1_bk0nbk1_mn_dppILi128EDF16_fDF16_LNS_25InMemoryDataOperationEnumE0ENS_13tensor_layout4gemm8RowMajorENS4_11ColumnMajorES5_NS_16tensor_operation12element_wise11PassThroughES9_S9_LNS7_6device18GemmSpecializationE4ELi64ELi64ELi64ELi32ELi8ELi8ELi2ELi2ELi2ENS_8SequenceIJLi4ELi32ELi1EEEENSC_IJLi1ELi0ELi2EEEESE_Li2ELi8ELi8ELb0ELb1ESD_SE_SE_Li2ELi2ELi2ELb0ELb1ENSC_IJLi0ELi2ELi4ELi1ELi3ELi5EEEELi5ELi1ELi1ELNS_15PipelineVersionE0EEELb1EEEvNT_8ArgumentE,comdat
.Lfunc_end1:
	.size	_ZN2ck15kernel_gemm_dppINS_35GridwiseGemm_ak0mak1_bk0nbk1_mn_dppILi128EDF16_fDF16_LNS_25InMemoryDataOperationEnumE0ENS_13tensor_layout4gemm8RowMajorENS4_11ColumnMajorES5_NS_16tensor_operation12element_wise11PassThroughES9_S9_LNS7_6device18GemmSpecializationE4ELi64ELi64ELi64ELi32ELi8ELi8ELi2ELi2ELi2ENS_8SequenceIJLi4ELi32ELi1EEEENSC_IJLi1ELi0ELi2EEEESE_Li2ELi8ELi8ELb0ELb1ESD_SE_SE_Li2ELi2ELi2ELb0ELb1ENSC_IJLi0ELi2ELi4ELi1ELi3ELi5EEEELi5ELi1ELi1ELNS_15PipelineVersionE0EEELb1EEEvNT_8ArgumentE, .Lfunc_end1-_ZN2ck15kernel_gemm_dppINS_35GridwiseGemm_ak0mak1_bk0nbk1_mn_dppILi128EDF16_fDF16_LNS_25InMemoryDataOperationEnumE0ENS_13tensor_layout4gemm8RowMajorENS4_11ColumnMajorES5_NS_16tensor_operation12element_wise11PassThroughES9_S9_LNS7_6device18GemmSpecializationE4ELi64ELi64ELi64ELi32ELi8ELi8ELi2ELi2ELi2ENS_8SequenceIJLi4ELi32ELi1EEEENSC_IJLi1ELi0ELi2EEEESE_Li2ELi8ELi8ELb0ELb1ESD_SE_SE_Li2ELi2ELi2ELb0ELb1ENSC_IJLi0ELi2ELi4ELi1ELi3ELi5EEEELi5ELi1ELi1ELNS_15PipelineVersionE0EEELb1EEEvNT_8ArgumentE
                                        ; -- End function
	.set _ZN2ck15kernel_gemm_dppINS_35GridwiseGemm_ak0mak1_bk0nbk1_mn_dppILi128EDF16_fDF16_LNS_25InMemoryDataOperationEnumE0ENS_13tensor_layout4gemm8RowMajorENS4_11ColumnMajorES5_NS_16tensor_operation12element_wise11PassThroughES9_S9_LNS7_6device18GemmSpecializationE4ELi64ELi64ELi64ELi32ELi8ELi8ELi2ELi2ELi2ENS_8SequenceIJLi4ELi32ELi1EEEENSC_IJLi1ELi0ELi2EEEESE_Li2ELi8ELi8ELb0ELb1ESD_SE_SE_Li2ELi2ELi2ELb0ELb1ENSC_IJLi0ELi2ELi4ELi1ELi3ELi5EEEELi5ELi1ELi1ELNS_15PipelineVersionE0EEELb1EEEvNT_8ArgumentE.num_vgpr, 159
	.set _ZN2ck15kernel_gemm_dppINS_35GridwiseGemm_ak0mak1_bk0nbk1_mn_dppILi128EDF16_fDF16_LNS_25InMemoryDataOperationEnumE0ENS_13tensor_layout4gemm8RowMajorENS4_11ColumnMajorES5_NS_16tensor_operation12element_wise11PassThroughES9_S9_LNS7_6device18GemmSpecializationE4ELi64ELi64ELi64ELi32ELi8ELi8ELi2ELi2ELi2ENS_8SequenceIJLi4ELi32ELi1EEEENSC_IJLi1ELi0ELi2EEEESE_Li2ELi8ELi8ELb0ELb1ESD_SE_SE_Li2ELi2ELi2ELb0ELb1ENSC_IJLi0ELi2ELi4ELi1ELi3ELi5EEEELi5ELi1ELi1ELNS_15PipelineVersionE0EEELb1EEEvNT_8ArgumentE.num_agpr, 0
	.set _ZN2ck15kernel_gemm_dppINS_35GridwiseGemm_ak0mak1_bk0nbk1_mn_dppILi128EDF16_fDF16_LNS_25InMemoryDataOperationEnumE0ENS_13tensor_layout4gemm8RowMajorENS4_11ColumnMajorES5_NS_16tensor_operation12element_wise11PassThroughES9_S9_LNS7_6device18GemmSpecializationE4ELi64ELi64ELi64ELi32ELi8ELi8ELi2ELi2ELi2ENS_8SequenceIJLi4ELi32ELi1EEEENSC_IJLi1ELi0ELi2EEEESE_Li2ELi8ELi8ELb0ELb1ESD_SE_SE_Li2ELi2ELi2ELb0ELb1ENSC_IJLi0ELi2ELi4ELi1ELi3ELi5EEEELi5ELi1ELi1ELNS_15PipelineVersionE0EEELb1EEEvNT_8ArgumentE.numbered_sgpr, 32
	.set _ZN2ck15kernel_gemm_dppINS_35GridwiseGemm_ak0mak1_bk0nbk1_mn_dppILi128EDF16_fDF16_LNS_25InMemoryDataOperationEnumE0ENS_13tensor_layout4gemm8RowMajorENS4_11ColumnMajorES5_NS_16tensor_operation12element_wise11PassThroughES9_S9_LNS7_6device18GemmSpecializationE4ELi64ELi64ELi64ELi32ELi8ELi8ELi2ELi2ELi2ENS_8SequenceIJLi4ELi32ELi1EEEENSC_IJLi1ELi0ELi2EEEESE_Li2ELi8ELi8ELb0ELb1ESD_SE_SE_Li2ELi2ELi2ELb0ELb1ENSC_IJLi0ELi2ELi4ELi1ELi3ELi5EEEELi5ELi1ELi1ELNS_15PipelineVersionE0EEELb1EEEvNT_8ArgumentE.num_named_barrier, 0
	.set _ZN2ck15kernel_gemm_dppINS_35GridwiseGemm_ak0mak1_bk0nbk1_mn_dppILi128EDF16_fDF16_LNS_25InMemoryDataOperationEnumE0ENS_13tensor_layout4gemm8RowMajorENS4_11ColumnMajorES5_NS_16tensor_operation12element_wise11PassThroughES9_S9_LNS7_6device18GemmSpecializationE4ELi64ELi64ELi64ELi32ELi8ELi8ELi2ELi2ELi2ENS_8SequenceIJLi4ELi32ELi1EEEENSC_IJLi1ELi0ELi2EEEESE_Li2ELi8ELi8ELb0ELb1ESD_SE_SE_Li2ELi2ELi2ELb0ELb1ENSC_IJLi0ELi2ELi4ELi1ELi3ELi5EEEELi5ELi1ELi1ELNS_15PipelineVersionE0EEELb1EEEvNT_8ArgumentE.private_seg_size, 0
	.set _ZN2ck15kernel_gemm_dppINS_35GridwiseGemm_ak0mak1_bk0nbk1_mn_dppILi128EDF16_fDF16_LNS_25InMemoryDataOperationEnumE0ENS_13tensor_layout4gemm8RowMajorENS4_11ColumnMajorES5_NS_16tensor_operation12element_wise11PassThroughES9_S9_LNS7_6device18GemmSpecializationE4ELi64ELi64ELi64ELi32ELi8ELi8ELi2ELi2ELi2ENS_8SequenceIJLi4ELi32ELi1EEEENSC_IJLi1ELi0ELi2EEEESE_Li2ELi8ELi8ELb0ELb1ESD_SE_SE_Li2ELi2ELi2ELb0ELb1ENSC_IJLi0ELi2ELi4ELi1ELi3ELi5EEEELi5ELi1ELi1ELNS_15PipelineVersionE0EEELb1EEEvNT_8ArgumentE.uses_vcc, 1
	.set _ZN2ck15kernel_gemm_dppINS_35GridwiseGemm_ak0mak1_bk0nbk1_mn_dppILi128EDF16_fDF16_LNS_25InMemoryDataOperationEnumE0ENS_13tensor_layout4gemm8RowMajorENS4_11ColumnMajorES5_NS_16tensor_operation12element_wise11PassThroughES9_S9_LNS7_6device18GemmSpecializationE4ELi64ELi64ELi64ELi32ELi8ELi8ELi2ELi2ELi2ENS_8SequenceIJLi4ELi32ELi1EEEENSC_IJLi1ELi0ELi2EEEESE_Li2ELi8ELi8ELb0ELb1ESD_SE_SE_Li2ELi2ELi2ELb0ELb1ENSC_IJLi0ELi2ELi4ELi1ELi3ELi5EEEELi5ELi1ELi1ELNS_15PipelineVersionE0EEELb1EEEvNT_8ArgumentE.uses_flat_scratch, 0
	.set _ZN2ck15kernel_gemm_dppINS_35GridwiseGemm_ak0mak1_bk0nbk1_mn_dppILi128EDF16_fDF16_LNS_25InMemoryDataOperationEnumE0ENS_13tensor_layout4gemm8RowMajorENS4_11ColumnMajorES5_NS_16tensor_operation12element_wise11PassThroughES9_S9_LNS7_6device18GemmSpecializationE4ELi64ELi64ELi64ELi32ELi8ELi8ELi2ELi2ELi2ENS_8SequenceIJLi4ELi32ELi1EEEENSC_IJLi1ELi0ELi2EEEESE_Li2ELi8ELi8ELb0ELb1ESD_SE_SE_Li2ELi2ELi2ELb0ELb1ENSC_IJLi0ELi2ELi4ELi1ELi3ELi5EEEELi5ELi1ELi1ELNS_15PipelineVersionE0EEELb1EEEvNT_8ArgumentE.has_dyn_sized_stack, 0
	.set _ZN2ck15kernel_gemm_dppINS_35GridwiseGemm_ak0mak1_bk0nbk1_mn_dppILi128EDF16_fDF16_LNS_25InMemoryDataOperationEnumE0ENS_13tensor_layout4gemm8RowMajorENS4_11ColumnMajorES5_NS_16tensor_operation12element_wise11PassThroughES9_S9_LNS7_6device18GemmSpecializationE4ELi64ELi64ELi64ELi32ELi8ELi8ELi2ELi2ELi2ENS_8SequenceIJLi4ELi32ELi1EEEENSC_IJLi1ELi0ELi2EEEESE_Li2ELi8ELi8ELb0ELb1ESD_SE_SE_Li2ELi2ELi2ELb0ELb1ENSC_IJLi0ELi2ELi4ELi1ELi3ELi5EEEELi5ELi1ELi1ELNS_15PipelineVersionE0EEELb1EEEvNT_8ArgumentE.has_recursion, 0
	.set _ZN2ck15kernel_gemm_dppINS_35GridwiseGemm_ak0mak1_bk0nbk1_mn_dppILi128EDF16_fDF16_LNS_25InMemoryDataOperationEnumE0ENS_13tensor_layout4gemm8RowMajorENS4_11ColumnMajorES5_NS_16tensor_operation12element_wise11PassThroughES9_S9_LNS7_6device18GemmSpecializationE4ELi64ELi64ELi64ELi32ELi8ELi8ELi2ELi2ELi2ENS_8SequenceIJLi4ELi32ELi1EEEENSC_IJLi1ELi0ELi2EEEESE_Li2ELi8ELi8ELb0ELb1ESD_SE_SE_Li2ELi2ELi2ELb0ELb1ENSC_IJLi0ELi2ELi4ELi1ELi3ELi5EEEELi5ELi1ELi1ELNS_15PipelineVersionE0EEELb1EEEvNT_8ArgumentE.has_indirect_call, 0
	.section	.AMDGPU.csdata,"",@progbits
; Kernel info:
; codeLenInByte = 46968
; TotalNumSgprs: 34
; NumVgprs: 159
; ScratchSize: 0
; MemoryBound: 0
; FloatMode: 240
; IeeeMode: 1
; LDSByteSize: 16624 bytes/workgroup (compile time only)
; SGPRBlocks: 0
; VGPRBlocks: 19
; NumSGPRsForWavesPerEU: 34
; NumVGPRsForWavesPerEU: 159
; Occupancy: 6
; WaveLimiterHint : 0
; COMPUTE_PGM_RSRC2:SCRATCH_EN: 0
; COMPUTE_PGM_RSRC2:USER_SGPR: 6
; COMPUTE_PGM_RSRC2:TRAP_HANDLER: 0
; COMPUTE_PGM_RSRC2:TGID_X_EN: 1
; COMPUTE_PGM_RSRC2:TGID_Y_EN: 0
; COMPUTE_PGM_RSRC2:TGID_Z_EN: 0
; COMPUTE_PGM_RSRC2:TIDIG_COMP_CNT: 0
	.section	.text._ZN2ck15kernel_gemm_dppINS_35GridwiseGemm_ak0mak1_bk0nbk1_mn_dppILi128EDF16_fDF16_LNS_25InMemoryDataOperationEnumE0ENS_13tensor_layout4gemm8RowMajorENS4_11ColumnMajorES5_NS_16tensor_operation12element_wise11PassThroughES9_S9_LNS7_6device18GemmSpecializationE4ELi64ELi64ELi64ELi32ELi8ELi8ELi2ELi2ELi2ENS_8SequenceIJLi4ELi32ELi1EEEENSC_IJLi1ELi0ELi2EEEESE_Li2ELi8ELi8ELb0ELb1ESD_SE_SE_Li2ELi2ELi2ELb0ELb1ENSC_IJLi0ELi2ELi4ELi1ELi3ELi5EEEELi5ELi1ELi1ELNS_15PipelineVersionE0EEELb0EEEvNT_8ArgumentE,"axG",@progbits,_ZN2ck15kernel_gemm_dppINS_35GridwiseGemm_ak0mak1_bk0nbk1_mn_dppILi128EDF16_fDF16_LNS_25InMemoryDataOperationEnumE0ENS_13tensor_layout4gemm8RowMajorENS4_11ColumnMajorES5_NS_16tensor_operation12element_wise11PassThroughES9_S9_LNS7_6device18GemmSpecializationE4ELi64ELi64ELi64ELi32ELi8ELi8ELi2ELi2ELi2ENS_8SequenceIJLi4ELi32ELi1EEEENSC_IJLi1ELi0ELi2EEEESE_Li2ELi8ELi8ELb0ELb1ESD_SE_SE_Li2ELi2ELi2ELb0ELb1ENSC_IJLi0ELi2ELi4ELi1ELi3ELi5EEEELi5ELi1ELi1ELNS_15PipelineVersionE0EEELb0EEEvNT_8ArgumentE,comdat
	.protected	_ZN2ck15kernel_gemm_dppINS_35GridwiseGemm_ak0mak1_bk0nbk1_mn_dppILi128EDF16_fDF16_LNS_25InMemoryDataOperationEnumE0ENS_13tensor_layout4gemm8RowMajorENS4_11ColumnMajorES5_NS_16tensor_operation12element_wise11PassThroughES9_S9_LNS7_6device18GemmSpecializationE4ELi64ELi64ELi64ELi32ELi8ELi8ELi2ELi2ELi2ENS_8SequenceIJLi4ELi32ELi1EEEENSC_IJLi1ELi0ELi2EEEESE_Li2ELi8ELi8ELb0ELb1ESD_SE_SE_Li2ELi2ELi2ELb0ELb1ENSC_IJLi0ELi2ELi4ELi1ELi3ELi5EEEELi5ELi1ELi1ELNS_15PipelineVersionE0EEELb0EEEvNT_8ArgumentE ; -- Begin function _ZN2ck15kernel_gemm_dppINS_35GridwiseGemm_ak0mak1_bk0nbk1_mn_dppILi128EDF16_fDF16_LNS_25InMemoryDataOperationEnumE0ENS_13tensor_layout4gemm8RowMajorENS4_11ColumnMajorES5_NS_16tensor_operation12element_wise11PassThroughES9_S9_LNS7_6device18GemmSpecializationE4ELi64ELi64ELi64ELi32ELi8ELi8ELi2ELi2ELi2ENS_8SequenceIJLi4ELi32ELi1EEEENSC_IJLi1ELi0ELi2EEEESE_Li2ELi8ELi8ELb0ELb1ESD_SE_SE_Li2ELi2ELi2ELb0ELb1ENSC_IJLi0ELi2ELi4ELi1ELi3ELi5EEEELi5ELi1ELi1ELNS_15PipelineVersionE0EEELb0EEEvNT_8ArgumentE
	.globl	_ZN2ck15kernel_gemm_dppINS_35GridwiseGemm_ak0mak1_bk0nbk1_mn_dppILi128EDF16_fDF16_LNS_25InMemoryDataOperationEnumE0ENS_13tensor_layout4gemm8RowMajorENS4_11ColumnMajorES5_NS_16tensor_operation12element_wise11PassThroughES9_S9_LNS7_6device18GemmSpecializationE4ELi64ELi64ELi64ELi32ELi8ELi8ELi2ELi2ELi2ENS_8SequenceIJLi4ELi32ELi1EEEENSC_IJLi1ELi0ELi2EEEESE_Li2ELi8ELi8ELb0ELb1ESD_SE_SE_Li2ELi2ELi2ELb0ELb1ENSC_IJLi0ELi2ELi4ELi1ELi3ELi5EEEELi5ELi1ELi1ELNS_15PipelineVersionE0EEELb0EEEvNT_8ArgumentE
	.p2align	8
	.type	_ZN2ck15kernel_gemm_dppINS_35GridwiseGemm_ak0mak1_bk0nbk1_mn_dppILi128EDF16_fDF16_LNS_25InMemoryDataOperationEnumE0ENS_13tensor_layout4gemm8RowMajorENS4_11ColumnMajorES5_NS_16tensor_operation12element_wise11PassThroughES9_S9_LNS7_6device18GemmSpecializationE4ELi64ELi64ELi64ELi32ELi8ELi8ELi2ELi2ELi2ENS_8SequenceIJLi4ELi32ELi1EEEENSC_IJLi1ELi0ELi2EEEESE_Li2ELi8ELi8ELb0ELb1ESD_SE_SE_Li2ELi2ELi2ELb0ELb1ENSC_IJLi0ELi2ELi4ELi1ELi3ELi5EEEELi5ELi1ELi1ELNS_15PipelineVersionE0EEELb0EEEvNT_8ArgumentE,@function
_ZN2ck15kernel_gemm_dppINS_35GridwiseGemm_ak0mak1_bk0nbk1_mn_dppILi128EDF16_fDF16_LNS_25InMemoryDataOperationEnumE0ENS_13tensor_layout4gemm8RowMajorENS4_11ColumnMajorES5_NS_16tensor_operation12element_wise11PassThroughES9_S9_LNS7_6device18GemmSpecializationE4ELi64ELi64ELi64ELi32ELi8ELi8ELi2ELi2ELi2ENS_8SequenceIJLi4ELi32ELi1EEEENSC_IJLi1ELi0ELi2EEEESE_Li2ELi8ELi8ELb0ELb1ESD_SE_SE_Li2ELi2ELi2ELb0ELb1ENSC_IJLi0ELi2ELi4ELi1ELi3ELi5EEEELi5ELi1ELi1ELNS_15PipelineVersionE0EEELb0EEEvNT_8ArgumentE: ; @_ZN2ck15kernel_gemm_dppINS_35GridwiseGemm_ak0mak1_bk0nbk1_mn_dppILi128EDF16_fDF16_LNS_25InMemoryDataOperationEnumE0ENS_13tensor_layout4gemm8RowMajorENS4_11ColumnMajorES5_NS_16tensor_operation12element_wise11PassThroughES9_S9_LNS7_6device18GemmSpecializationE4ELi64ELi64ELi64ELi32ELi8ELi8ELi2ELi2ELi2ENS_8SequenceIJLi4ELi32ELi1EEEENSC_IJLi1ELi0ELi2EEEESE_Li2ELi8ELi8ELb0ELb1ESD_SE_SE_Li2ELi2ELi2ELb0ELb1ENSC_IJLi0ELi2ELi4ELi1ELi3ELi5EEEELi5ELi1ELi1ELNS_15PipelineVersionE0EEELb0EEEvNT_8ArgumentE
; %bb.0:
	s_getpc_b64 s[0:1]
	s_add_u32 s0, s0, _ZN2ck35GridwiseGemm_ak0mak1_bk0nbk1_mn_dppILi128EDF16_fDF16_LNS_25InMemoryDataOperationEnumE0ENS_13tensor_layout4gemm8RowMajorENS3_11ColumnMajorES4_NS_16tensor_operation12element_wise11PassThroughES8_S8_LNS6_6device18GemmSpecializationE4ELi64ELi64ELi64ELi32ELi8ELi8ELi2ELi2ELi2ENS_8SequenceIJLi4ELi32ELi1EEEENSB_IJLi1ELi0ELi2EEEESD_Li2ELi8ELi8ELb0ELb1ESC_SD_SD_Li2ELi2ELi2ELb0ELb1ENSB_IJLi0ELi2ELi4ELi1ELi3ELi5EEEELi5ELi1ELi1ELNS_15PipelineVersionE0EE13matrix_padderE@rel32@lo+4
	s_addc_u32 s1, s1, _ZN2ck35GridwiseGemm_ak0mak1_bk0nbk1_mn_dppILi128EDF16_fDF16_LNS_25InMemoryDataOperationEnumE0ENS_13tensor_layout4gemm8RowMajorENS3_11ColumnMajorES4_NS_16tensor_operation12element_wise11PassThroughES8_S8_LNS6_6device18GemmSpecializationE4ELi64ELi64ELi64ELi32ELi8ELi8ELi2ELi2ELi2ENS_8SequenceIJLi4ELi32ELi1EEEENSB_IJLi1ELi0ELi2EEEESD_Li2ELi8ELi8ELb0ELb1ESC_SD_SD_Li2ELi2ELi2ELb0ELb1ENSB_IJLi0ELi2ELi4ELi1ELi3ELi5EEEELi5ELi1ELi1ELNS_15PipelineVersionE0EE13matrix_padderE@rel32@hi+12
	s_clause 0x1
	s_load_dwordx4 s[8:11], s[4:5], 0x10
	s_load_dwordx2 s[16:17], s[4:5], 0x20
	s_load_dwordx2 s[2:3], s[0:1], 0x0
	v_lshlrev_b32_e32 v2, 1, v0
	v_lshlrev_b32_e32 v5, 3, v0
	v_lshrrev_b32_e32 v50, 2, v0
	v_mov_b32_e32 v49, 0
	v_mov_b32_e32 v46, 0
	v_and_b32_e32 v4, 6, v2
	v_and_b32_e32 v22, 24, v5
	v_mov_b32_e32 v45, 0
	v_mov_b32_e32 v42, 0
	;; [unrolled: 1-line block ×10, first 2 shown]
	s_waitcnt lgkmcnt(0)
	s_add_i32 s14, s8, -1
	v_mov_b32_e32 v40, 0
	s_abs_i32 s0, s2
	s_add_i32 s2, s14, s2
	v_cvt_f32_u32_e32 v1, s0
	s_sub_i32 s7, 0, s0
	s_abs_i32 s12, s2
	v_mov_b32_e32 v39, 0
	v_mov_b32_e32 v35, 0
	v_rcp_iflag_f32_e32 v1, v1
	v_mov_b32_e32 v36, 0
	v_mul_f32_e32 v1, 0x4f7ffffe, v1
	v_cvt_u32_f32_e32 v1, v1
	v_readfirstlane_b32 s1, v1
	s_mul_i32 s7, s7, s1
	s_mul_hi_u32 s7, s1, s7
	s_add_i32 s1, s1, s7
	s_mul_i32 s7, s14, s11
	s_mul_hi_u32 s1, s12, s1
	s_mul_i32 s14, s14, s17
	s_mul_i32 s13, s1, s0
	s_add_u32 s1, s7, s10
	s_sub_i32 s7, s12, s13
	s_ashr_i32 s12, s2, 31
	s_sub_i32 s13, s7, s0
	s_cmp_ge_u32 s7, s0
	s_cselect_b32 s7, s13, s7
	s_sub_i32 s13, s7, s0
	s_cmp_ge_u32 s7, s0
	s_cselect_b32 s0, s13, s7
	s_abs_i32 s7, s3
	s_add_i32 s3, s9, s3
	v_cvt_f32_u32_e32 v1, s7
	s_sub_i32 s18, 0, s7
	s_add_i32 s3, s3, -1
	s_xor_b32 s0, s0, s12
	s_abs_i32 s19, s3
	v_rcp_iflag_f32_e32 v1, v1
	s_sub_i32 s0, s12, s0
	s_add_i32 s13, s9, -1
	s_add_i32 s0, s2, s0
	s_mul_i32 s13, s13, s16
	s_add_u32 s20, s13, s10
	s_ashr_i32 s10, s3, 31
	v_mul_f32_e32 v1, 0x4f7ffffe, v1
	v_cvt_u32_f32_e32 v1, v1
	v_readfirstlane_b32 s15, v1
	s_mul_i32 s18, s18, s15
	s_mul_hi_u32 s18, s15, s18
	s_add_i32 s15, s15, s18
	s_mul_hi_u32 s12, s19, s15
	s_mul_i32 s12, s12, s7
	s_sub_i32 s12, s19, s12
	s_sub_i32 s2, s12, s7
	s_cmp_ge_u32 s12, s7
	s_cselect_b32 s2, s2, s12
	s_sub_i32 s12, s2, s7
	s_cmp_ge_u32 s2, s7
	s_cselect_b32 s2, s12, s2
	s_add_i32 s0, s0, 63
	s_xor_b32 s2, s2, s10
	s_sub_i32 s2, s10, s2
	s_add_i32 s2, s3, s2
	s_ashr_i32 s3, s0, 31
	s_add_i32 s2, s2, 63
	s_lshr_b32 s3, s3, 26
	s_ashr_i32 s7, s2, 31
	s_add_i32 s0, s0, s3
	s_lshr_b32 s7, s7, 26
	s_ashr_i32 s0, s0, 6
	s_add_i32 s2, s2, s7
	s_ashr_i32 s15, s2, 6
	s_mul_i32 s2, s15, s0
	s_abs_i32 s19, s2
	s_getpc_b64 s[2:3]
	s_add_u32 s2, s2, _ZN2ck45BlockwiseGemmDpp_ak0mak1_bk0nbk1_m0n0m1n1m2n2ILi128EDF16_fKNS_16TensorDescriptorINS_5TupleIJNS_5EmbedINS2_IJNS_17integral_constantIiLi8EEENS4_IiLi64EEES5_EEENS2_IJNS4_IiLi520EEES5_NS4_IiLi1EEEEEELb0EEEEEENS2_IJNS_8SequenceIJLi0EEEEEEENS2_IJNSD_IJLi1ELi2ELi3EEEEEEESG_NS4_IlLl4152EEEEEKNS1_INS2_IJNS3_INS2_IJNS4_IiLi32EEES6_NS4_IiLi2EEEEEENS2_IJNS4_IiLi130EEESM_S9_EEELb0EEEEEESF_SH_SG_NS4_IlLl4158EEEEELi32ELi8ELi2ELi2ELi8EE6MWavesE@rel32@lo+4
	s_addc_u32 s3, s3, _ZN2ck45BlockwiseGemmDpp_ak0mak1_bk0nbk1_m0n0m1n1m2n2ILi128EDF16_fKNS_16TensorDescriptorINS_5TupleIJNS_5EmbedINS2_IJNS_17integral_constantIiLi8EEENS4_IiLi64EEES5_EEENS2_IJNS4_IiLi520EEES5_NS4_IiLi1EEEEEELb0EEEEEENS2_IJNS_8SequenceIJLi0EEEEEEENS2_IJNSD_IJLi1ELi2ELi3EEEEEEESG_NS4_IlLl4152EEEEEKNS1_INS2_IJNS3_INS2_IJNS4_IiLi32EEES6_NS4_IiLi2EEEEEENS2_IJNS4_IiLi130EEESM_S9_EEELb0EEEEEESF_SH_SG_NS4_IlLl4158EEEEELi32ELi8ELi2ELi2ELi8EE6MWavesE@rel32@hi+12
	v_cvt_f32_u32_e32 v1, s19
	s_getpc_b64 s[12:13]
	s_add_u32 s12, s12, _ZN2ck45BlockwiseGemmDpp_ak0mak1_bk0nbk1_m0n0m1n1m2n2ILi128EDF16_fKNS_16TensorDescriptorINS_5TupleIJNS_5EmbedINS2_IJNS_17integral_constantIiLi8EEENS4_IiLi64EEES5_EEENS2_IJNS4_IiLi520EEES5_NS4_IiLi1EEEEEELb0EEEEEENS2_IJNS_8SequenceIJLi0EEEEEEENS2_IJNSD_IJLi1ELi2ELi3EEEEEEESG_NS4_IlLl4152EEEEEKNS1_INS2_IJNS3_INS2_IJNS4_IiLi32EEES6_NS4_IiLi2EEEEEENS2_IJNS4_IiLi130EEESM_S9_EEELb0EEEEEESF_SH_SG_NS4_IlLl4158EEEEELi32ELi8ELi2ELi2ELi8EE6NWavesE@rel32@lo+4
	s_addc_u32 s13, s13, _ZN2ck45BlockwiseGemmDpp_ak0mak1_bk0nbk1_m0n0m1n1m2n2ILi128EDF16_fKNS_16TensorDescriptorINS_5TupleIJNS_5EmbedINS2_IJNS_17integral_constantIiLi8EEENS4_IiLi64EEES5_EEENS2_IJNS4_IiLi520EEES5_NS4_IiLi1EEEEEELb0EEEEEENS2_IJNS_8SequenceIJLi0EEEEEEENS2_IJNSD_IJLi1ELi2ELi3EEEEEEESG_NS4_IlLl4152EEEEEKNS1_INS2_IJNS3_INS2_IJNS4_IiLi32EEES6_NS4_IiLi2EEEEEENS2_IJNS4_IiLi130EEESM_S9_EEELb0EEEEEESF_SH_SG_NS4_IlLl4158EEEEELi32ELi8ELi2ELi2ELi8EE6NWavesE@rel32@hi+12
	s_load_dword s2, s[2:3], 0x0
	s_load_dword s3, s[12:13], 0x0
	s_sub_i32 s10, 0, s19
	v_rcp_iflag_f32_e32 v1, v1
	s_abs_i32 s12, s6
	s_ashr_i32 s6, s6, 31
	v_mul_f32_e32 v1, 0x4f7ffffe, v1
	v_cvt_u32_f32_e32 v1, v1
	s_waitcnt lgkmcnt(0)
	s_lshl_b32 s18, s2, 5
	v_readfirstlane_b32 s7, v1
	s_mul_i32 s10, s10, s7
	s_mul_hi_u32 s10, s7, s10
	s_add_i32 s10, s7, s10
	s_add_u32 s7, s14, s9
	s_mul_hi_u32 s10, s12, s10
	s_mul_i32 s10, s10, s19
	s_sub_i32 s2, s12, s10
	s_lshl_b32 s10, s3, 3
	s_sub_i32 s3, s2, s19
	s_cmp_ge_u32 s2, s19
	s_cselect_b32 s2, s3, s2
	s_sub_i32 s3, s2, s19
	s_cmp_ge_u32 s2, s19
	s_cselect_b32 s2, s3, s2
	s_abs_i32 s3, s15
	s_xor_b32 s2, s2, s6
	v_cvt_f32_u32_e32 v1, s3
	s_sub_i32 s13, 0, s3
	s_sub_i32 s2, s2, s6
	v_rcp_iflag_f32_e32 v1, v1
	v_mul_f32_e32 v1, 0x4f7ffffe, v1
	v_cvt_u32_f32_e32 v1, v1
	v_readfirstlane_b32 s12, v1
	s_mul_i32 s13, s13, s12
	s_mul_hi_u32 s6, s12, s13
	s_abs_i32 s13, s2
	s_add_i32 s12, s12, s6
	s_mul_hi_u32 s6, s13, s12
	s_xor_b32 s12, s2, s15
	s_mul_i32 s14, s6, s3
	s_ashr_i32 s12, s12, 31
	s_sub_i32 s13, s13, s14
	s_add_i32 s14, s6, 1
	s_sub_i32 s19, s13, s3
	s_cmp_ge_u32 s13, s3
	s_cselect_b32 s6, s14, s6
	s_cselect_b32 s13, s19, s13
	s_add_i32 s14, s6, 1
	s_cmp_ge_u32 s13, s3
	s_cselect_b32 s3, s14, s6
	s_lshr_b32 s6, s0, 29
	s_xor_b32 s3, s3, s12
	s_add_i32 s6, s0, s6
	s_sub_i32 s3, s3, s12
	s_and_b32 s6, s6, -8
	s_mul_i32 s13, s3, s15
	s_sub_i32 s0, s0, s6
	s_cmp_ge_i32 s3, s6
	s_cselect_b32 s0, s0, 8
	s_ashr_i32 s12, s3, 31
	s_abs_i32 s6, s0
	s_lshr_b32 s12, s12, 29
	v_cvt_f32_u32_e32 v1, s6
	s_add_i32 s12, s3, s12
	s_sub_i32 s2, s2, s13
	s_and_b32 s12, s12, -8
	s_sub_i32 s13, 0, s6
	v_rcp_iflag_f32_e32 v1, v1
	s_sub_i32 s3, s3, s12
	s_mul_i32 s3, s3, s15
	s_add_i32 s3, s3, s2
	v_mul_f32_e32 v1, 0x4f7ffffe, v1
	v_cvt_u32_f32_e32 v1, v1
	v_readfirstlane_b32 s14, v1
	v_lshrrev_b32_e32 v1, 1, v0
	s_mul_i32 s13, s13, s14
	v_and_b32_e32 v3, 0x7e, v1
	s_mul_hi_u32 s2, s14, s13
	s_abs_i32 s13, s3
	s_add_i32 s14, s14, s2
	s_mul_hi_u32 s2, s13, s14
	s_xor_b32 s14, s3, s0
	s_mul_i32 s15, s2, s6
	s_ashr_i32 s14, s14, 31
	s_sub_i32 s13, s13, s15
	s_add_i32 s15, s2, 1
	s_sub_i32 s19, s13, s6
	s_cmp_ge_u32 s13, s6
	s_cselect_b32 s2, s15, s2
	s_cselect_b32 s13, s19, s13
	s_add_i32 s15, s2, 1
	s_cmp_ge_u32 s13, s6
	s_cselect_b32 s2, s15, s2
	s_xor_b32 s2, s2, s14
	s_sub_i32 s2, s2, s14
	s_mul_i32 s0, s2, s0
	s_lshl_b32 s6, s2, 6
	s_sub_i32 s0, s3, s0
	v_add_nc_u32_e32 v2, s6, v3
	s_add_i32 s0, s12, s0
	s_load_dwordx4 s[12:15], s[4:5], 0x38
	s_lshl_b32 s19, s0, 6
	s_mov_b32 s3, 0x31014000
	v_add_nc_u32_e32 v1, s19, v3
	v_mul_lo_u32 v9, v2, s16
	s_lshl_b32 s2, s1, 1
	v_or_b32_e32 v72, 1, v2
	s_load_dwordx2 s[4:5], s[4:5], 0x48
	v_mul_lo_u32 v6, v1, s11
	v_cmp_gt_i32_e32 vcc_lo, s8, v1
	v_lshl_add_u32 v17, v22, 1, v9
	v_lshl_add_u32 v6, v4, 3, v6
	v_add_nc_u32_e32 v21, 14, v17
	v_lshlrev_b32_e32 v23, 1, v17
	v_add_lshl_u32 v24, v17, s16, 1
	s_waitcnt lgkmcnt(0)
	s_mov_b32 s0, s12
	v_add_nc_u32_e32 v13, 8, v6
	v_lshlrev_b32_e32 v5, 1, v6
	v_add_lshl_u32 v10, v6, s11, 1
	s_and_b32 s1, s13, 0xffff
	v_add_lshl_u32 v25, v21, s16, 1
	v_lshlrev_b32_e32 v14, 1, v13
	v_add_lshl_u32 v18, v13, s11, 1
	s_clause 0x1
	buffer_load_dwordx4 v[5:8], v5, s[0:3], 0 offen
	buffer_load_dwordx4 v[9:12], v10, s[0:3], 0 offen
	v_lshlrev_b32_e32 v21, 1, v21
	s_clause 0x1
	buffer_load_dwordx4 v[13:16], v14, s[0:3], 0 offen
	buffer_load_dwordx4 v[17:20], v18, s[0:3], 0 offen
	s_lshl_b32 s2, s20, 1
	s_and_b32 s1, s15, 0xffff
	s_mov_b32 s0, s14
	v_add_nc_u32_e32 v26, -4, v25
	s_clause 0x1
	buffer_load_dwordx4 v[51:54], v23, s[0:3], 0 offen
	buffer_load_dwordx3 v[55:57], v23, s[0:3], 0 offen offset:16
	v_add_nc_u32_e32 v27, -8, v25
	v_add_nc_u32_e32 v28, -12, v25
	;; [unrolled: 1-line block ×3, first 2 shown]
	v_subrev_nc_u32_e32 v23, 20, v25
	v_subrev_nc_u32_e32 v30, 24, v25
	s_clause 0x8
	buffer_load_dword v58, v21, s[0:3], 0 offen
	buffer_load_dword v59, v25, s[0:3], 0 offen
	;; [unrolled: 1-line block ×9, first 2 shown]
	v_lshlrev_b32_e32 v24, 4, v3
	v_and_b32_e32 v21, 7, v0
	v_lshlrev_b32_e32 v3, 2, v3
	v_and_b32_e32 v23, 31, v0
	v_cmp_gt_i32_e64 s1, s9, v2
	v_mad_u32_u24 v67, 0x410, v4, v24
	v_or_b32_e32 v4, 1, v1
	v_and_or_b32 v21, v50, 24, v21
	v_mad_u32_u24 v3, 0x104, v22, v3
	v_and_or_b32 v23, v50, 32, v23
	v_cmp_gt_i32_e64 s2, s9, v72
	v_cmp_gt_i32_e64 s0, s8, v4
	v_lshlrev_b32_e32 v95, 2, v21
	v_add_nc_u32_e32 v68, 0x2174, v3
	v_add_nc_u32_e32 v69, 0x237c, v3
	;; [unrolled: 1-line block ×5, first 2 shown]
	v_lshlrev_b32_e32 v33, 4, v23
	v_add_nc_u32_e32 v28, 0x2000, v95
	v_add_nc_u32_e32 v29, 0x2400, v95
	;; [unrolled: 1-line block ×11, first 2 shown]
	s_and_b32 s5, s5, 0xffff
	s_waitcnt vmcnt(14)
	v_cndmask_b32_e32 v4, 0, v8, vcc_lo
	v_cndmask_b32_e32 v3, 0, v7, vcc_lo
	;; [unrolled: 1-line block ×4, first 2 shown]
	s_waitcnt vmcnt(13)
	v_cndmask_b32_e64 v8, 0, v12, s0
	v_cndmask_b32_e64 v7, 0, v11, s0
	;; [unrolled: 1-line block ×4, first 2 shown]
	s_waitcnt vmcnt(12)
	v_cndmask_b32_e32 v12, 0, v16, vcc_lo
	v_cndmask_b32_e32 v11, 0, v15, vcc_lo
	;; [unrolled: 1-line block ×4, first 2 shown]
	s_waitcnt vmcnt(11)
	v_cndmask_b32_e64 v16, 0, v20, s0
	v_cndmask_b32_e64 v15, 0, v19, s0
	;; [unrolled: 1-line block ×4, first 2 shown]
	ds_write_b128 v67, v[1:4]
	ds_write_b128 v67, v[5:8] offset:16
	s_waitcnt vmcnt(10)
	v_cndmask_b32_e64 v1, 0, v51, s1
	s_waitcnt vmcnt(8)
	v_cndmask_b32_e64 v20, 0, v58, s1
	;; [unrolled: 2-line block ×3, first 2 shown]
	v_cndmask_b32_e64 v17, 0, v52, s1
	v_cndmask_b32_e64 v19, 0, v56, s1
	s_waitcnt vmcnt(5)
	v_cndmask_b32_e64 v52, 0, v61, s2
	v_cndmask_b32_e64 v3, 0, v53, s1
	;; [unrolled: 1-line block ×6, first 2 shown]
	s_waitcnt vmcnt(4)
	v_cndmask_b32_e64 v6, 0, v62, s2
	s_waitcnt vmcnt(3)
	v_cndmask_b32_e64 v53, 0, v63, s2
	;; [unrolled: 2-line block ×5, first 2 shown]
	ds_write_b128 v67, v[9:12] offset:1040
	ds_write_b128 v67, v[13:16] offset:1056
	ds_write2_b32 v71, v20, v51 offset1:1
	ds_write2_b32 v70, v19, v52 offset1:1
	ds_write2_b64 v73, v[5:6], v[7:8] offset0:144 offset1:209
	ds_write2_b32 v69, v18, v53 offset1:1
	ds_write2_b32 v68, v17, v54 offset1:1
	ds_write2_b64 v73, v[1:2], v[3:4] offset0:14 offset1:79
	s_waitcnt lgkmcnt(0)
	s_barrier
	ds_read_b128 v[5:8], v33
	ds_read_b128 v[9:12], v33 offset:1040
	ds_read2_b32 v[59:60], v28 offset0:28 offset1:93
	ds_read2_b32 v[61:62], v28 offset0:158 offset1:223
	;; [unrolled: 1-line block ×16, first 2 shown]
	ds_read_b128 v[13:16], v33 offset:2080
	ds_read_b128 v[17:20], v33 offset:3120
	;; [unrolled: 1-line block ×6, first 2 shown]
	s_waitcnt lgkmcnt(21)
	;;#ASMSTART
	
 v_dot2c_f32_f16_dpp v49, v5, v59 dpp8:[0, 0, 0, 0, 0, 0, 0, 0]
	;;#ASMEND
	;;#ASMSTART
	
 v_dot2c_f32_f16_dpp v46, v5, v59 dpp8:[1, 1, 1, 1, 1, 1, 1, 1]
	;;#ASMEND
	;; [unrolled: 4-line block ×16, first 2 shown]
	s_waitcnt lgkmcnt(20)
	;;#ASMSTART
	
 v_dot2c_f32_f16_dpp v49, v7, v61 dpp8:[0, 0, 0, 0, 0, 0, 0, 0]
	;;#ASMEND
	;;#ASMSTART
	
 v_dot2c_f32_f16_dpp v46, v7, v61 dpp8:[1, 1, 1, 1, 1, 1, 1, 1]
	;;#ASMEND
	;; [unrolled: 4-line block ×16, first 2 shown]
	s_waitcnt lgkmcnt(19)
	;;#ASMSTART
	
 v_dot2c_f32_f16_dpp v49, v9, v67 dpp8:[0, 0, 0, 0, 0, 0, 0, 0]
	;;#ASMEND
	;;#ASMSTART
	
 v_dot2c_f32_f16_dpp v46, v9, v67 dpp8:[1, 1, 1, 1, 1, 1, 1, 1]
	;;#ASMEND
	;; [unrolled: 4-line block ×16, first 2 shown]
	s_waitcnt lgkmcnt(18)
	;;#ASMSTART
	
 v_dot2c_f32_f16_dpp v49, v11, v69 dpp8:[0, 0, 0, 0, 0, 0, 0, 0]
	;;#ASMEND
	;;#ASMSTART
	
 v_dot2c_f32_f16_dpp v46, v11, v69 dpp8:[1, 1, 1, 1, 1, 1, 1, 1]
	;;#ASMEND
	;; [unrolled: 4-line block ×16, first 2 shown]
	s_waitcnt lgkmcnt(5)
	;;#ASMSTART
	
 v_dot2c_f32_f16_dpp v49, v13, v71 dpp8:[0, 0, 0, 0, 0, 0, 0, 0]
	;;#ASMEND
	;;#ASMSTART
	
 v_dot2c_f32_f16_dpp v46, v13, v71 dpp8:[1, 1, 1, 1, 1, 1, 1, 1]
	;;#ASMEND
	;; [unrolled: 4-line block ×32, first 2 shown]
	s_waitcnt lgkmcnt(4)
	;;#ASMSTART
	
 v_dot2c_f32_f16_dpp v49, v17, v75 dpp8:[0, 0, 0, 0, 0, 0, 0, 0]
	;;#ASMEND
	;;#ASMSTART
	
 v_dot2c_f32_f16_dpp v46, v17, v75 dpp8:[1, 1, 1, 1, 1, 1, 1, 1]
	;;#ASMEND
	;; [unrolled: 4-line block ×32, first 2 shown]
	s_waitcnt lgkmcnt(3)
	;;#ASMSTART
	
 v_dot2c_f32_f16_dpp v49, v51, v79 dpp8:[0, 0, 0, 0, 0, 0, 0, 0]
	;;#ASMEND
	;;#ASMSTART
	
 v_dot2c_f32_f16_dpp v46, v51, v79 dpp8:[1, 1, 1, 1, 1, 1, 1, 1]
	;;#ASMEND
	;;#ASMSTART
	
 v_dot2c_f32_f16_dpp v45, v51, v79 dpp8:[2, 2, 2, 2, 2, 2, 2, 2]
	;;#ASMEND
	;;#ASMSTART
	
 v_dot2c_f32_f16_dpp v42, v51, v79 dpp8:[3, 3, 3, 3, 3, 3, 3, 3]
	;;#ASMEND
	;;#ASMSTART
	
 v_dot2c_f32_f16_dpp v41, v51, v79 dpp8:[4, 4, 4, 4, 4, 4, 4, 4]
	;;#ASMEND
	;;#ASMSTART
	
 v_dot2c_f32_f16_dpp v38, v51, v79 dpp8:[5, 5, 5, 5, 5, 5, 5, 5]
	;;#ASMEND
	;;#ASMSTART
	
 v_dot2c_f32_f16_dpp v37, v51, v79 dpp8:[6, 6, 6, 6, 6, 6, 6, 6]
	;;#ASMEND
	;;#ASMSTART
	
 v_dot2c_f32_f16_dpp v34, v51, v79 dpp8:[7, 7, 7, 7, 7, 7, 7, 7]
	;;#ASMEND
	;;#ASMSTART
	
 v_dot2c_f32_f16_dpp v49, v52, v80 dpp8:[0, 0, 0, 0, 0, 0, 0, 0]
	;;#ASMEND
	;;#ASMSTART
	
 v_dot2c_f32_f16_dpp v46, v52, v80 dpp8:[1, 1, 1, 1, 1, 1, 1, 1]
	;;#ASMEND
	;;#ASMSTART
	
 v_dot2c_f32_f16_dpp v45, v52, v80 dpp8:[2, 2, 2, 2, 2, 2, 2, 2]
	;;#ASMEND
	;;#ASMSTART
	
 v_dot2c_f32_f16_dpp v42, v52, v80 dpp8:[3, 3, 3, 3, 3, 3, 3, 3]
	;;#ASMEND
	;;#ASMSTART
	
 v_dot2c_f32_f16_dpp v41, v52, v80 dpp8:[4, 4, 4, 4, 4, 4, 4, 4]
	;;#ASMEND
	;;#ASMSTART
	
 v_dot2c_f32_f16_dpp v38, v52, v80 dpp8:[5, 5, 5, 5, 5, 5, 5, 5]
	;;#ASMEND
	;;#ASMSTART
	
 v_dot2c_f32_f16_dpp v37, v52, v80 dpp8:[6, 6, 6, 6, 6, 6, 6, 6]
	;;#ASMEND
	;;#ASMSTART
	
 v_dot2c_f32_f16_dpp v34, v52, v80 dpp8:[7, 7, 7, 7, 7, 7, 7, 7]
	;;#ASMEND
	;;#ASMSTART
	
 v_dot2c_f32_f16_dpp v49, v53, v81 dpp8:[0, 0, 0, 0, 0, 0, 0, 0]
	;;#ASMEND
	;;#ASMSTART
	
 v_dot2c_f32_f16_dpp v46, v53, v81 dpp8:[1, 1, 1, 1, 1, 1, 1, 1]
	;;#ASMEND
	;;#ASMSTART
	
 v_dot2c_f32_f16_dpp v45, v53, v81 dpp8:[2, 2, 2, 2, 2, 2, 2, 2]
	;;#ASMEND
	;;#ASMSTART
	
 v_dot2c_f32_f16_dpp v42, v53, v81 dpp8:[3, 3, 3, 3, 3, 3, 3, 3]
	;;#ASMEND
	;;#ASMSTART
	
 v_dot2c_f32_f16_dpp v41, v53, v81 dpp8:[4, 4, 4, 4, 4, 4, 4, 4]
	;;#ASMEND
	;;#ASMSTART
	
 v_dot2c_f32_f16_dpp v38, v53, v81 dpp8:[5, 5, 5, 5, 5, 5, 5, 5]
	;;#ASMEND
	;;#ASMSTART
	
 v_dot2c_f32_f16_dpp v37, v53, v81 dpp8:[6, 6, 6, 6, 6, 6, 6, 6]
	;;#ASMEND
	;;#ASMSTART
	
 v_dot2c_f32_f16_dpp v34, v53, v81 dpp8:[7, 7, 7, 7, 7, 7, 7, 7]
	;;#ASMEND
	;;#ASMSTART
	
 v_dot2c_f32_f16_dpp v49, v54, v82 dpp8:[0, 0, 0, 0, 0, 0, 0, 0]
	;;#ASMEND
	;;#ASMSTART
	
 v_dot2c_f32_f16_dpp v46, v54, v82 dpp8:[1, 1, 1, 1, 1, 1, 1, 1]
	;;#ASMEND
	;;#ASMSTART
	
 v_dot2c_f32_f16_dpp v45, v54, v82 dpp8:[2, 2, 2, 2, 2, 2, 2, 2]
	;;#ASMEND
	;;#ASMSTART
	
 v_dot2c_f32_f16_dpp v42, v54, v82 dpp8:[3, 3, 3, 3, 3, 3, 3, 3]
	;;#ASMEND
	;;#ASMSTART
	
 v_dot2c_f32_f16_dpp v41, v54, v82 dpp8:[4, 4, 4, 4, 4, 4, 4, 4]
	;;#ASMEND
	;;#ASMSTART
	
 v_dot2c_f32_f16_dpp v38, v54, v82 dpp8:[5, 5, 5, 5, 5, 5, 5, 5]
	;;#ASMEND
	;;#ASMSTART
	
 v_dot2c_f32_f16_dpp v37, v54, v82 dpp8:[6, 6, 6, 6, 6, 6, 6, 6]
	;;#ASMEND
	;;#ASMSTART
	
 v_dot2c_f32_f16_dpp v34, v54, v82 dpp8:[7, 7, 7, 7, 7, 7, 7, 7]
	;;#ASMEND
	s_waitcnt lgkmcnt(2)
	;;#ASMSTART
	
 v_dot2c_f32_f16_dpp v49, v55, v83 dpp8:[0, 0, 0, 0, 0, 0, 0, 0]
	;;#ASMEND
	;;#ASMSTART
	
 v_dot2c_f32_f16_dpp v46, v55, v83 dpp8:[1, 1, 1, 1, 1, 1, 1, 1]
	;;#ASMEND
	;; [unrolled: 4-line block ×32, first 2 shown]
	s_waitcnt lgkmcnt(1)
	;;#ASMSTART
	
 v_dot2c_f32_f16_dpp v49, v63, v87 dpp8:[0, 0, 0, 0, 0, 0, 0, 0]
	;;#ASMEND
	;;#ASMSTART
	
 v_dot2c_f32_f16_dpp v46, v63, v87 dpp8:[1, 1, 1, 1, 1, 1, 1, 1]
	;;#ASMEND
	;;#ASMSTART
	
 v_dot2c_f32_f16_dpp v45, v63, v87 dpp8:[2, 2, 2, 2, 2, 2, 2, 2]
	;;#ASMEND
	;;#ASMSTART
	
 v_dot2c_f32_f16_dpp v42, v63, v87 dpp8:[3, 3, 3, 3, 3, 3, 3, 3]
	;;#ASMEND
	;;#ASMSTART
	
 v_dot2c_f32_f16_dpp v41, v63, v87 dpp8:[4, 4, 4, 4, 4, 4, 4, 4]
	;;#ASMEND
	;;#ASMSTART
	
 v_dot2c_f32_f16_dpp v38, v63, v87 dpp8:[5, 5, 5, 5, 5, 5, 5, 5]
	;;#ASMEND
	;;#ASMSTART
	
 v_dot2c_f32_f16_dpp v37, v63, v87 dpp8:[6, 6, 6, 6, 6, 6, 6, 6]
	;;#ASMEND
	;;#ASMSTART
	
 v_dot2c_f32_f16_dpp v34, v63, v87 dpp8:[7, 7, 7, 7, 7, 7, 7, 7]
	;;#ASMEND
	;;#ASMSTART
	
 v_dot2c_f32_f16_dpp v49, v64, v88 dpp8:[0, 0, 0, 0, 0, 0, 0, 0]
	;;#ASMEND
	;;#ASMSTART
	
 v_dot2c_f32_f16_dpp v46, v64, v88 dpp8:[1, 1, 1, 1, 1, 1, 1, 1]
	;;#ASMEND
	;;#ASMSTART
	
 v_dot2c_f32_f16_dpp v45, v64, v88 dpp8:[2, 2, 2, 2, 2, 2, 2, 2]
	;;#ASMEND
	;;#ASMSTART
	
 v_dot2c_f32_f16_dpp v42, v64, v88 dpp8:[3, 3, 3, 3, 3, 3, 3, 3]
	;;#ASMEND
	;;#ASMSTART
	
 v_dot2c_f32_f16_dpp v41, v64, v88 dpp8:[4, 4, 4, 4, 4, 4, 4, 4]
	;;#ASMEND
	;;#ASMSTART
	
 v_dot2c_f32_f16_dpp v38, v64, v88 dpp8:[5, 5, 5, 5, 5, 5, 5, 5]
	;;#ASMEND
	;;#ASMSTART
	
 v_dot2c_f32_f16_dpp v37, v64, v88 dpp8:[6, 6, 6, 6, 6, 6, 6, 6]
	;;#ASMEND
	;;#ASMSTART
	
 v_dot2c_f32_f16_dpp v34, v64, v88 dpp8:[7, 7, 7, 7, 7, 7, 7, 7]
	;;#ASMEND
	;;#ASMSTART
	
 v_dot2c_f32_f16_dpp v49, v65, v89 dpp8:[0, 0, 0, 0, 0, 0, 0, 0]
	;;#ASMEND
	;;#ASMSTART
	
 v_dot2c_f32_f16_dpp v46, v65, v89 dpp8:[1, 1, 1, 1, 1, 1, 1, 1]
	;;#ASMEND
	;;#ASMSTART
	
 v_dot2c_f32_f16_dpp v45, v65, v89 dpp8:[2, 2, 2, 2, 2, 2, 2, 2]
	;;#ASMEND
	;;#ASMSTART
	
 v_dot2c_f32_f16_dpp v42, v65, v89 dpp8:[3, 3, 3, 3, 3, 3, 3, 3]
	;;#ASMEND
	;;#ASMSTART
	
 v_dot2c_f32_f16_dpp v41, v65, v89 dpp8:[4, 4, 4, 4, 4, 4, 4, 4]
	;;#ASMEND
	;;#ASMSTART
	
 v_dot2c_f32_f16_dpp v38, v65, v89 dpp8:[5, 5, 5, 5, 5, 5, 5, 5]
	;;#ASMEND
	;;#ASMSTART
	
 v_dot2c_f32_f16_dpp v37, v65, v89 dpp8:[6, 6, 6, 6, 6, 6, 6, 6]
	;;#ASMEND
	;;#ASMSTART
	
 v_dot2c_f32_f16_dpp v34, v65, v89 dpp8:[7, 7, 7, 7, 7, 7, 7, 7]
	;;#ASMEND
	;;#ASMSTART
	
 v_dot2c_f32_f16_dpp v49, v66, v90 dpp8:[0, 0, 0, 0, 0, 0, 0, 0]
	;;#ASMEND
	;;#ASMSTART
	
 v_dot2c_f32_f16_dpp v46, v66, v90 dpp8:[1, 1, 1, 1, 1, 1, 1, 1]
	;;#ASMEND
	;;#ASMSTART
	
 v_dot2c_f32_f16_dpp v45, v66, v90 dpp8:[2, 2, 2, 2, 2, 2, 2, 2]
	;;#ASMEND
	;;#ASMSTART
	
 v_dot2c_f32_f16_dpp v42, v66, v90 dpp8:[3, 3, 3, 3, 3, 3, 3, 3]
	;;#ASMEND
	;;#ASMSTART
	
 v_dot2c_f32_f16_dpp v41, v66, v90 dpp8:[4, 4, 4, 4, 4, 4, 4, 4]
	;;#ASMEND
	;;#ASMSTART
	
 v_dot2c_f32_f16_dpp v38, v66, v90 dpp8:[5, 5, 5, 5, 5, 5, 5, 5]
	;;#ASMEND
	;;#ASMSTART
	
 v_dot2c_f32_f16_dpp v37, v66, v90 dpp8:[6, 6, 6, 6, 6, 6, 6, 6]
	;;#ASMEND
	;;#ASMSTART
	
 v_dot2c_f32_f16_dpp v34, v66, v90 dpp8:[7, 7, 7, 7, 7, 7, 7, 7]
	;;#ASMEND
	s_waitcnt lgkmcnt(0)
	;;#ASMSTART
	
 v_dot2c_f32_f16_dpp v49, v1, v91 dpp8:[0, 0, 0, 0, 0, 0, 0, 0]
	;;#ASMEND
	;;#ASMSTART
	
 v_dot2c_f32_f16_dpp v46, v1, v91 dpp8:[1, 1, 1, 1, 1, 1, 1, 1]
	;;#ASMEND
	;;#ASMSTART
	
 v_dot2c_f32_f16_dpp v45, v1, v91 dpp8:[2, 2, 2, 2, 2, 2, 2, 2]
	;;#ASMEND
	;;#ASMSTART
	
 v_dot2c_f32_f16_dpp v42, v1, v91 dpp8:[3, 3, 3, 3, 3, 3, 3, 3]
	;;#ASMEND
	;;#ASMSTART
	
 v_dot2c_f32_f16_dpp v41, v1, v91 dpp8:[4, 4, 4, 4, 4, 4, 4, 4]
	;;#ASMEND
	;;#ASMSTART
	
 v_dot2c_f32_f16_dpp v38, v1, v91 dpp8:[5, 5, 5, 5, 5, 5, 5, 5]
	;;#ASMEND
	;;#ASMSTART
	
 v_dot2c_f32_f16_dpp v37, v1, v91 dpp8:[6, 6, 6, 6, 6, 6, 6, 6]
	;;#ASMEND
	;;#ASMSTART
	
 v_dot2c_f32_f16_dpp v34, v1, v91 dpp8:[7, 7, 7, 7, 7, 7, 7, 7]
	;;#ASMEND
	;;#ASMSTART
	
 v_dot2c_f32_f16_dpp v49, v2, v92 dpp8:[0, 0, 0, 0, 0, 0, 0, 0]
	;;#ASMEND
	;;#ASMSTART
	
 v_dot2c_f32_f16_dpp v46, v2, v92 dpp8:[1, 1, 1, 1, 1, 1, 1, 1]
	;;#ASMEND
	;;#ASMSTART
	
 v_dot2c_f32_f16_dpp v45, v2, v92 dpp8:[2, 2, 2, 2, 2, 2, 2, 2]
	;;#ASMEND
	;;#ASMSTART
	
 v_dot2c_f32_f16_dpp v42, v2, v92 dpp8:[3, 3, 3, 3, 3, 3, 3, 3]
	;;#ASMEND
	;;#ASMSTART
	
 v_dot2c_f32_f16_dpp v41, v2, v92 dpp8:[4, 4, 4, 4, 4, 4, 4, 4]
	;;#ASMEND
	;;#ASMSTART
	
 v_dot2c_f32_f16_dpp v38, v2, v92 dpp8:[5, 5, 5, 5, 5, 5, 5, 5]
	;;#ASMEND
	;;#ASMSTART
	
 v_dot2c_f32_f16_dpp v37, v2, v92 dpp8:[6, 6, 6, 6, 6, 6, 6, 6]
	;;#ASMEND
	;;#ASMSTART
	
 v_dot2c_f32_f16_dpp v34, v2, v92 dpp8:[7, 7, 7, 7, 7, 7, 7, 7]
	;;#ASMEND
	;;#ASMSTART
	
 v_dot2c_f32_f16_dpp v49, v3, v93 dpp8:[0, 0, 0, 0, 0, 0, 0, 0]
	;;#ASMEND
	;;#ASMSTART
	
 v_dot2c_f32_f16_dpp v46, v3, v93 dpp8:[1, 1, 1, 1, 1, 1, 1, 1]
	;;#ASMEND
	;;#ASMSTART
	
 v_dot2c_f32_f16_dpp v45, v3, v93 dpp8:[2, 2, 2, 2, 2, 2, 2, 2]
	;;#ASMEND
	;;#ASMSTART
	
 v_dot2c_f32_f16_dpp v42, v3, v93 dpp8:[3, 3, 3, 3, 3, 3, 3, 3]
	;;#ASMEND
	;;#ASMSTART
	
 v_dot2c_f32_f16_dpp v41, v3, v93 dpp8:[4, 4, 4, 4, 4, 4, 4, 4]
	;;#ASMEND
	;;#ASMSTART
	
 v_dot2c_f32_f16_dpp v38, v3, v93 dpp8:[5, 5, 5, 5, 5, 5, 5, 5]
	;;#ASMEND
	;;#ASMSTART
	
 v_dot2c_f32_f16_dpp v37, v3, v93 dpp8:[6, 6, 6, 6, 6, 6, 6, 6]
	;;#ASMEND
	;;#ASMSTART
	
 v_dot2c_f32_f16_dpp v34, v3, v93 dpp8:[7, 7, 7, 7, 7, 7, 7, 7]
	;;#ASMEND
	;;#ASMSTART
	
 v_dot2c_f32_f16_dpp v49, v4, v94 dpp8:[0, 0, 0, 0, 0, 0, 0, 0]
	;;#ASMEND
	;;#ASMSTART
	
 v_dot2c_f32_f16_dpp v46, v4, v94 dpp8:[1, 1, 1, 1, 1, 1, 1, 1]
	;;#ASMEND
	;;#ASMSTART
	
 v_dot2c_f32_f16_dpp v45, v4, v94 dpp8:[2, 2, 2, 2, 2, 2, 2, 2]
	;;#ASMEND
	;;#ASMSTART
	
 v_dot2c_f32_f16_dpp v42, v4, v94 dpp8:[3, 3, 3, 3, 3, 3, 3, 3]
	;;#ASMEND
	;;#ASMSTART
	
 v_dot2c_f32_f16_dpp v41, v4, v94 dpp8:[4, 4, 4, 4, 4, 4, 4, 4]
	;;#ASMEND
	;;#ASMSTART
	
 v_dot2c_f32_f16_dpp v38, v4, v94 dpp8:[5, 5, 5, 5, 5, 5, 5, 5]
	;;#ASMEND
	;;#ASMSTART
	
 v_dot2c_f32_f16_dpp v37, v4, v94 dpp8:[6, 6, 6, 6, 6, 6, 6, 6]
	;;#ASMEND
	;;#ASMSTART
	
 v_dot2c_f32_f16_dpp v34, v4, v94 dpp8:[7, 7, 7, 7, 7, 7, 7, 7]
	;;#ASMEND
	ds_read2_b32 v[67:68], v28 offset0:60 offset1:125
	v_add_nc_u32_e32 v61, 0x3200, v95
	v_add_nc_u32_e32 v59, 0x3600, v95
	;; [unrolled: 1-line block ×4, first 2 shown]
	ds_read2_b32 v[69:70], v28 offset0:190 offset1:255
	ds_read2_b32 v[71:72], v29 offset0:64 offset1:129
	;; [unrolled: 1-line block ×15, first 2 shown]
	s_waitcnt lgkmcnt(15)
	;;#ASMSTART
	
 v_dot2c_f32_f16_dpp v48, v5, v67 dpp8:[0, 0, 0, 0, 0, 0, 0, 0]
	;;#ASMEND
	;;#ASMSTART
	
 v_dot2c_f32_f16_dpp v47, v5, v67 dpp8:[1, 1, 1, 1, 1, 1, 1, 1]
	;;#ASMEND
	;; [unrolled: 4-line block ×16, first 2 shown]
	s_waitcnt lgkmcnt(14)
	;;#ASMSTART
	
 v_dot2c_f32_f16_dpp v48, v7, v69 dpp8:[0, 0, 0, 0, 0, 0, 0, 0]
	;;#ASMEND
	;;#ASMSTART
	
 v_dot2c_f32_f16_dpp v47, v7, v69 dpp8:[1, 1, 1, 1, 1, 1, 1, 1]
	;;#ASMEND
	;; [unrolled: 4-line block ×16, first 2 shown]
	s_waitcnt lgkmcnt(13)
	;;#ASMSTART
	
 v_dot2c_f32_f16_dpp v48, v9, v71 dpp8:[0, 0, 0, 0, 0, 0, 0, 0]
	;;#ASMEND
	;;#ASMSTART
	
 v_dot2c_f32_f16_dpp v47, v9, v71 dpp8:[1, 1, 1, 1, 1, 1, 1, 1]
	;;#ASMEND
	;; [unrolled: 4-line block ×16, first 2 shown]
	s_waitcnt lgkmcnt(12)
	;;#ASMSTART
	
 v_dot2c_f32_f16_dpp v48, v11, v73 dpp8:[0, 0, 0, 0, 0, 0, 0, 0]
	;;#ASMEND
	;;#ASMSTART
	
 v_dot2c_f32_f16_dpp v47, v11, v73 dpp8:[1, 1, 1, 1, 1, 1, 1, 1]
	;;#ASMEND
	;; [unrolled: 4-line block ×16, first 2 shown]
	s_waitcnt lgkmcnt(11)
	;;#ASMSTART
	
 v_dot2c_f32_f16_dpp v48, v13, v75 dpp8:[0, 0, 0, 0, 0, 0, 0, 0]
	;;#ASMEND
	;;#ASMSTART
	
 v_dot2c_f32_f16_dpp v47, v13, v75 dpp8:[1, 1, 1, 1, 1, 1, 1, 1]
	;;#ASMEND
	;;#ASMSTART
	
 v_dot2c_f32_f16_dpp v43, v13, v75 dpp8:[2, 2, 2, 2, 2, 2, 2, 2]
	;;#ASMEND
	;;#ASMSTART
	
 v_dot2c_f32_f16_dpp v44, v13, v75 dpp8:[3, 3, 3, 3, 3, 3, 3, 3]
	;;#ASMEND
	;;#ASMSTART
	
 v_dot2c_f32_f16_dpp v40, v13, v75 dpp8:[4, 4, 4, 4, 4, 4, 4, 4]
	;;#ASMEND
	;;#ASMSTART
	
 v_dot2c_f32_f16_dpp v39, v13, v75 dpp8:[5, 5, 5, 5, 5, 5, 5, 5]
	;;#ASMEND
	;;#ASMSTART
	
 v_dot2c_f32_f16_dpp v35, v13, v75 dpp8:[6, 6, 6, 6, 6, 6, 6, 6]
	;;#ASMEND
	;;#ASMSTART
	
 v_dot2c_f32_f16_dpp v36, v13, v75 dpp8:[7, 7, 7, 7, 7, 7, 7, 7]
	;;#ASMEND
	;;#ASMSTART
	
 v_dot2c_f32_f16_dpp v48, v14, v76 dpp8:[0, 0, 0, 0, 0, 0, 0, 0]
	;;#ASMEND
	;;#ASMSTART
	
 v_dot2c_f32_f16_dpp v47, v14, v76 dpp8:[1, 1, 1, 1, 1, 1, 1, 1]
	;;#ASMEND
	;;#ASMSTART
	
 v_dot2c_f32_f16_dpp v43, v14, v76 dpp8:[2, 2, 2, 2, 2, 2, 2, 2]
	;;#ASMEND
	;;#ASMSTART
	
 v_dot2c_f32_f16_dpp v44, v14, v76 dpp8:[3, 3, 3, 3, 3, 3, 3, 3]
	;;#ASMEND
	;;#ASMSTART
	
 v_dot2c_f32_f16_dpp v40, v14, v76 dpp8:[4, 4, 4, 4, 4, 4, 4, 4]
	;;#ASMEND
	;;#ASMSTART
	
 v_dot2c_f32_f16_dpp v39, v14, v76 dpp8:[5, 5, 5, 5, 5, 5, 5, 5]
	;;#ASMEND
	;;#ASMSTART
	
 v_dot2c_f32_f16_dpp v35, v14, v76 dpp8:[6, 6, 6, 6, 6, 6, 6, 6]
	;;#ASMEND
	;;#ASMSTART
	
 v_dot2c_f32_f16_dpp v36, v14, v76 dpp8:[7, 7, 7, 7, 7, 7, 7, 7]
	;;#ASMEND
	s_waitcnt lgkmcnt(10)
	;;#ASMSTART
	
 v_dot2c_f32_f16_dpp v48, v15, v77 dpp8:[0, 0, 0, 0, 0, 0, 0, 0]
	;;#ASMEND
	;;#ASMSTART
	
 v_dot2c_f32_f16_dpp v47, v15, v77 dpp8:[1, 1, 1, 1, 1, 1, 1, 1]
	;;#ASMEND
	;; [unrolled: 4-line block ×16, first 2 shown]
	s_waitcnt lgkmcnt(9)
	;;#ASMSTART
	
 v_dot2c_f32_f16_dpp v48, v17, v79 dpp8:[0, 0, 0, 0, 0, 0, 0, 0]
	;;#ASMEND
	;;#ASMSTART
	
 v_dot2c_f32_f16_dpp v47, v17, v79 dpp8:[1, 1, 1, 1, 1, 1, 1, 1]
	;;#ASMEND
	;; [unrolled: 4-line block ×16, first 2 shown]
	s_waitcnt lgkmcnt(8)
	;;#ASMSTART
	
 v_dot2c_f32_f16_dpp v48, v19, v81 dpp8:[0, 0, 0, 0, 0, 0, 0, 0]
	;;#ASMEND
	;;#ASMSTART
	
 v_dot2c_f32_f16_dpp v47, v19, v81 dpp8:[1, 1, 1, 1, 1, 1, 1, 1]
	;;#ASMEND
	;; [unrolled: 4-line block ×16, first 2 shown]
	s_waitcnt lgkmcnt(7)
	;;#ASMSTART
	
 v_dot2c_f32_f16_dpp v48, v51, v83 dpp8:[0, 0, 0, 0, 0, 0, 0, 0]
	;;#ASMEND
	;;#ASMSTART
	
 v_dot2c_f32_f16_dpp v47, v51, v83 dpp8:[1, 1, 1, 1, 1, 1, 1, 1]
	;;#ASMEND
	;; [unrolled: 4-line block ×16, first 2 shown]
	s_waitcnt lgkmcnt(6)
	;;#ASMSTART
	
 v_dot2c_f32_f16_dpp v48, v53, v85 dpp8:[0, 0, 0, 0, 0, 0, 0, 0]
	;;#ASMEND
	;;#ASMSTART
	
 v_dot2c_f32_f16_dpp v47, v53, v85 dpp8:[1, 1, 1, 1, 1, 1, 1, 1]
	;;#ASMEND
	;; [unrolled: 4-line block ×16, first 2 shown]
	s_waitcnt lgkmcnt(5)
	;;#ASMSTART
	
 v_dot2c_f32_f16_dpp v48, v55, v87 dpp8:[0, 0, 0, 0, 0, 0, 0, 0]
	;;#ASMEND
	;;#ASMSTART
	
 v_dot2c_f32_f16_dpp v47, v55, v87 dpp8:[1, 1, 1, 1, 1, 1, 1, 1]
	;;#ASMEND
	;; [unrolled: 4-line block ×16, first 2 shown]
	s_waitcnt lgkmcnt(4)
	;;#ASMSTART
	
 v_dot2c_f32_f16_dpp v48, v57, v89 dpp8:[0, 0, 0, 0, 0, 0, 0, 0]
	;;#ASMEND
	;;#ASMSTART
	
 v_dot2c_f32_f16_dpp v47, v57, v89 dpp8:[1, 1, 1, 1, 1, 1, 1, 1]
	;;#ASMEND
	;; [unrolled: 4-line block ×16, first 2 shown]
	s_waitcnt lgkmcnt(3)
	;;#ASMSTART
	
 v_dot2c_f32_f16_dpp v48, v63, v91 dpp8:[0, 0, 0, 0, 0, 0, 0, 0]
	;;#ASMEND
	;;#ASMSTART
	
 v_dot2c_f32_f16_dpp v47, v63, v91 dpp8:[1, 1, 1, 1, 1, 1, 1, 1]
	;;#ASMEND
	;; [unrolled: 4-line block ×16, first 2 shown]
	s_waitcnt lgkmcnt(2)
	;;#ASMSTART
	
 v_dot2c_f32_f16_dpp v48, v65, v93 dpp8:[0, 0, 0, 0, 0, 0, 0, 0]
	;;#ASMEND
	;;#ASMSTART
	
 v_dot2c_f32_f16_dpp v47, v65, v93 dpp8:[1, 1, 1, 1, 1, 1, 1, 1]
	;;#ASMEND
	;; [unrolled: 4-line block ×16, first 2 shown]
	s_waitcnt lgkmcnt(1)
	;;#ASMSTART
	
 v_dot2c_f32_f16_dpp v48, v1, v95 dpp8:[0, 0, 0, 0, 0, 0, 0, 0]
	;;#ASMEND
	;;#ASMSTART
	
 v_dot2c_f32_f16_dpp v47, v1, v95 dpp8:[1, 1, 1, 1, 1, 1, 1, 1]
	;;#ASMEND
	;; [unrolled: 4-line block ×16, first 2 shown]
	s_waitcnt lgkmcnt(0)
	;;#ASMSTART
	
 v_dot2c_f32_f16_dpp v48, v3, v97 dpp8:[0, 0, 0, 0, 0, 0, 0, 0]
	;;#ASMEND
	;;#ASMSTART
	
 v_dot2c_f32_f16_dpp v47, v3, v97 dpp8:[1, 1, 1, 1, 1, 1, 1, 1]
	;;#ASMEND
	;;#ASMSTART
	
 v_dot2c_f32_f16_dpp v43, v3, v97 dpp8:[2, 2, 2, 2, 2, 2, 2, 2]
	;;#ASMEND
	;;#ASMSTART
	
 v_dot2c_f32_f16_dpp v44, v3, v97 dpp8:[3, 3, 3, 3, 3, 3, 3, 3]
	;;#ASMEND
	;;#ASMSTART
	
 v_dot2c_f32_f16_dpp v40, v3, v97 dpp8:[4, 4, 4, 4, 4, 4, 4, 4]
	;;#ASMEND
	;;#ASMSTART
	
 v_dot2c_f32_f16_dpp v39, v3, v97 dpp8:[5, 5, 5, 5, 5, 5, 5, 5]
	;;#ASMEND
	;;#ASMSTART
	
 v_dot2c_f32_f16_dpp v35, v3, v97 dpp8:[6, 6, 6, 6, 6, 6, 6, 6]
	;;#ASMEND
	;;#ASMSTART
	
 v_dot2c_f32_f16_dpp v36, v3, v97 dpp8:[7, 7, 7, 7, 7, 7, 7, 7]
	;;#ASMEND
	;;#ASMSTART
	
 v_dot2c_f32_f16_dpp v48, v4, v98 dpp8:[0, 0, 0, 0, 0, 0, 0, 0]
	;;#ASMEND
	;;#ASMSTART
	
 v_dot2c_f32_f16_dpp v47, v4, v98 dpp8:[1, 1, 1, 1, 1, 1, 1, 1]
	;;#ASMEND
	;;#ASMSTART
	
 v_dot2c_f32_f16_dpp v43, v4, v98 dpp8:[2, 2, 2, 2, 2, 2, 2, 2]
	;;#ASMEND
	;;#ASMSTART
	
 v_dot2c_f32_f16_dpp v44, v4, v98 dpp8:[3, 3, 3, 3, 3, 3, 3, 3]
	;;#ASMEND
	;;#ASMSTART
	
 v_dot2c_f32_f16_dpp v40, v4, v98 dpp8:[4, 4, 4, 4, 4, 4, 4, 4]
	;;#ASMEND
	;;#ASMSTART
	
 v_dot2c_f32_f16_dpp v39, v4, v98 dpp8:[5, 5, 5, 5, 5, 5, 5, 5]
	;;#ASMEND
	;;#ASMSTART
	
 v_dot2c_f32_f16_dpp v35, v4, v98 dpp8:[6, 6, 6, 6, 6, 6, 6, 6]
	;;#ASMEND
	;;#ASMSTART
	
 v_dot2c_f32_f16_dpp v36, v4, v98 dpp8:[7, 7, 7, 7, 7, 7, 7, 7]
	;;#ASMEND
	ds_read2_b32 v[63:64], v28 offset0:28 offset1:93
	ds_read2_b32 v[65:66], v28 offset0:158 offset1:223
	;; [unrolled: 1-line block ×5, first 2 shown]
	ds_read_b128 v[67:70], v33 offset:512
	ds_read2_b32 v[85:86], v27 offset0:166 offset1:231
	ds_read2_b32 v[87:88], v26 offset0:40 offset1:105
	;; [unrolled: 1-line block ×11, first 2 shown]
	ds_read_b128 v[71:74], v33 offset:1552
	ds_read_b128 v[75:78], v33 offset:2592
	;; [unrolled: 1-line block ×5, first 2 shown]
	v_mov_b32_e32 v51, 0
	v_mov_b32_e32 v52, 0
	;; [unrolled: 1-line block ×8, first 2 shown]
	ds_read_b128 v[5:8], v33 offset:6752
	ds_read_b128 v[1:4], v33 offset:7792
	s_waitcnt lgkmcnt(18)
	;;#ASMSTART
	
 v_dot2c_f32_f16_dpp v51, v67, v63 dpp8:[0, 0, 0, 0, 0, 0, 0, 0]
	;;#ASMEND
	;;#ASMSTART
	
 v_dot2c_f32_f16_dpp v52, v67, v63 dpp8:[1, 1, 1, 1, 1, 1, 1, 1]
	;;#ASMEND
	;; [unrolled: 4-line block ×32, first 2 shown]
	s_waitcnt lgkmcnt(6)
	;;#ASMSTART
	
 v_dot2c_f32_f16_dpp v51, v71, v79 dpp8:[0, 0, 0, 0, 0, 0, 0, 0]
	;;#ASMEND
	;;#ASMSTART
	
 v_dot2c_f32_f16_dpp v52, v71, v79 dpp8:[1, 1, 1, 1, 1, 1, 1, 1]
	;;#ASMEND
	;; [unrolled: 4-line block ×32, first 2 shown]
	s_waitcnt lgkmcnt(5)
	;;#ASMSTART
	
 v_dot2c_f32_f16_dpp v51, v75, v83 dpp8:[0, 0, 0, 0, 0, 0, 0, 0]
	;;#ASMEND
	;;#ASMSTART
	
 v_dot2c_f32_f16_dpp v52, v75, v83 dpp8:[1, 1, 1, 1, 1, 1, 1, 1]
	;;#ASMEND
	;; [unrolled: 4-line block ×32, first 2 shown]
	s_waitcnt lgkmcnt(4)
	;;#ASMSTART
	
 v_dot2c_f32_f16_dpp v51, v17, v87 dpp8:[0, 0, 0, 0, 0, 0, 0, 0]
	;;#ASMEND
	;;#ASMSTART
	
 v_dot2c_f32_f16_dpp v52, v17, v87 dpp8:[1, 1, 1, 1, 1, 1, 1, 1]
	;;#ASMEND
	;;#ASMSTART
	
 v_dot2c_f32_f16_dpp v53, v17, v87 dpp8:[2, 2, 2, 2, 2, 2, 2, 2]
	;;#ASMEND
	;;#ASMSTART
	
 v_dot2c_f32_f16_dpp v54, v17, v87 dpp8:[3, 3, 3, 3, 3, 3, 3, 3]
	;;#ASMEND
	;;#ASMSTART
	
 v_dot2c_f32_f16_dpp v55, v17, v87 dpp8:[4, 4, 4, 4, 4, 4, 4, 4]
	;;#ASMEND
	;;#ASMSTART
	
 v_dot2c_f32_f16_dpp v56, v17, v87 dpp8:[5, 5, 5, 5, 5, 5, 5, 5]
	;;#ASMEND
	;;#ASMSTART
	
 v_dot2c_f32_f16_dpp v57, v17, v87 dpp8:[6, 6, 6, 6, 6, 6, 6, 6]
	;;#ASMEND
	;;#ASMSTART
	
 v_dot2c_f32_f16_dpp v58, v17, v87 dpp8:[7, 7, 7, 7, 7, 7, 7, 7]
	;;#ASMEND
	;;#ASMSTART
	
 v_dot2c_f32_f16_dpp v51, v18, v88 dpp8:[0, 0, 0, 0, 0, 0, 0, 0]
	;;#ASMEND
	;;#ASMSTART
	
 v_dot2c_f32_f16_dpp v52, v18, v88 dpp8:[1, 1, 1, 1, 1, 1, 1, 1]
	;;#ASMEND
	;;#ASMSTART
	
 v_dot2c_f32_f16_dpp v53, v18, v88 dpp8:[2, 2, 2, 2, 2, 2, 2, 2]
	;;#ASMEND
	;;#ASMSTART
	
 v_dot2c_f32_f16_dpp v54, v18, v88 dpp8:[3, 3, 3, 3, 3, 3, 3, 3]
	;;#ASMEND
	;;#ASMSTART
	
 v_dot2c_f32_f16_dpp v55, v18, v88 dpp8:[4, 4, 4, 4, 4, 4, 4, 4]
	;;#ASMEND
	;;#ASMSTART
	
 v_dot2c_f32_f16_dpp v56, v18, v88 dpp8:[5, 5, 5, 5, 5, 5, 5, 5]
	;;#ASMEND
	;;#ASMSTART
	
 v_dot2c_f32_f16_dpp v57, v18, v88 dpp8:[6, 6, 6, 6, 6, 6, 6, 6]
	;;#ASMEND
	;;#ASMSTART
	
 v_dot2c_f32_f16_dpp v58, v18, v88 dpp8:[7, 7, 7, 7, 7, 7, 7, 7]
	;;#ASMEND
	;;#ASMSTART
	
 v_dot2c_f32_f16_dpp v51, v19, v89 dpp8:[0, 0, 0, 0, 0, 0, 0, 0]
	;;#ASMEND
	;;#ASMSTART
	
 v_dot2c_f32_f16_dpp v52, v19, v89 dpp8:[1, 1, 1, 1, 1, 1, 1, 1]
	;;#ASMEND
	;;#ASMSTART
	
 v_dot2c_f32_f16_dpp v53, v19, v89 dpp8:[2, 2, 2, 2, 2, 2, 2, 2]
	;;#ASMEND
	;;#ASMSTART
	
 v_dot2c_f32_f16_dpp v54, v19, v89 dpp8:[3, 3, 3, 3, 3, 3, 3, 3]
	;;#ASMEND
	;;#ASMSTART
	
 v_dot2c_f32_f16_dpp v55, v19, v89 dpp8:[4, 4, 4, 4, 4, 4, 4, 4]
	;;#ASMEND
	;;#ASMSTART
	
 v_dot2c_f32_f16_dpp v56, v19, v89 dpp8:[5, 5, 5, 5, 5, 5, 5, 5]
	;;#ASMEND
	;;#ASMSTART
	
 v_dot2c_f32_f16_dpp v57, v19, v89 dpp8:[6, 6, 6, 6, 6, 6, 6, 6]
	;;#ASMEND
	;;#ASMSTART
	
 v_dot2c_f32_f16_dpp v58, v19, v89 dpp8:[7, 7, 7, 7, 7, 7, 7, 7]
	;;#ASMEND
	;;#ASMSTART
	
 v_dot2c_f32_f16_dpp v51, v20, v90 dpp8:[0, 0, 0, 0, 0, 0, 0, 0]
	;;#ASMEND
	;;#ASMSTART
	
 v_dot2c_f32_f16_dpp v52, v20, v90 dpp8:[1, 1, 1, 1, 1, 1, 1, 1]
	;;#ASMEND
	;;#ASMSTART
	
 v_dot2c_f32_f16_dpp v53, v20, v90 dpp8:[2, 2, 2, 2, 2, 2, 2, 2]
	;;#ASMEND
	;;#ASMSTART
	
 v_dot2c_f32_f16_dpp v54, v20, v90 dpp8:[3, 3, 3, 3, 3, 3, 3, 3]
	;;#ASMEND
	;;#ASMSTART
	
 v_dot2c_f32_f16_dpp v55, v20, v90 dpp8:[4, 4, 4, 4, 4, 4, 4, 4]
	;;#ASMEND
	;;#ASMSTART
	
 v_dot2c_f32_f16_dpp v56, v20, v90 dpp8:[5, 5, 5, 5, 5, 5, 5, 5]
	;;#ASMEND
	;;#ASMSTART
	
 v_dot2c_f32_f16_dpp v57, v20, v90 dpp8:[6, 6, 6, 6, 6, 6, 6, 6]
	;;#ASMEND
	;;#ASMSTART
	
 v_dot2c_f32_f16_dpp v58, v20, v90 dpp8:[7, 7, 7, 7, 7, 7, 7, 7]
	;;#ASMEND
	s_waitcnt lgkmcnt(3)
	;;#ASMSTART
	
 v_dot2c_f32_f16_dpp v51, v13, v91 dpp8:[0, 0, 0, 0, 0, 0, 0, 0]
	;;#ASMEND
	;;#ASMSTART
	
 v_dot2c_f32_f16_dpp v52, v13, v91 dpp8:[1, 1, 1, 1, 1, 1, 1, 1]
	;;#ASMEND
	;;#ASMSTART
	
 v_dot2c_f32_f16_dpp v53, v13, v91 dpp8:[2, 2, 2, 2, 2, 2, 2, 2]
	;;#ASMEND
	;;#ASMSTART
	
 v_dot2c_f32_f16_dpp v54, v13, v91 dpp8:[3, 3, 3, 3, 3, 3, 3, 3]
	;;#ASMEND
	;;#ASMSTART
	
 v_dot2c_f32_f16_dpp v55, v13, v91 dpp8:[4, 4, 4, 4, 4, 4, 4, 4]
	;;#ASMEND
	;;#ASMSTART
	
 v_dot2c_f32_f16_dpp v56, v13, v91 dpp8:[5, 5, 5, 5, 5, 5, 5, 5]
	;;#ASMEND
	;;#ASMSTART
	
 v_dot2c_f32_f16_dpp v57, v13, v91 dpp8:[6, 6, 6, 6, 6, 6, 6, 6]
	;;#ASMEND
	;;#ASMSTART
	
 v_dot2c_f32_f16_dpp v58, v13, v91 dpp8:[7, 7, 7, 7, 7, 7, 7, 7]
	;;#ASMEND
	;;#ASMSTART
	
 v_dot2c_f32_f16_dpp v51, v14, v92 dpp8:[0, 0, 0, 0, 0, 0, 0, 0]
	;;#ASMEND
	;;#ASMSTART
	
 v_dot2c_f32_f16_dpp v52, v14, v92 dpp8:[1, 1, 1, 1, 1, 1, 1, 1]
	;;#ASMEND
	;;#ASMSTART
	
 v_dot2c_f32_f16_dpp v53, v14, v92 dpp8:[2, 2, 2, 2, 2, 2, 2, 2]
	;;#ASMEND
	;;#ASMSTART
	
 v_dot2c_f32_f16_dpp v54, v14, v92 dpp8:[3, 3, 3, 3, 3, 3, 3, 3]
	;;#ASMEND
	;;#ASMSTART
	
 v_dot2c_f32_f16_dpp v55, v14, v92 dpp8:[4, 4, 4, 4, 4, 4, 4, 4]
	;;#ASMEND
	;;#ASMSTART
	
 v_dot2c_f32_f16_dpp v56, v14, v92 dpp8:[5, 5, 5, 5, 5, 5, 5, 5]
	;;#ASMEND
	;;#ASMSTART
	
 v_dot2c_f32_f16_dpp v57, v14, v92 dpp8:[6, 6, 6, 6, 6, 6, 6, 6]
	;;#ASMEND
	;;#ASMSTART
	
 v_dot2c_f32_f16_dpp v58, v14, v92 dpp8:[7, 7, 7, 7, 7, 7, 7, 7]
	;;#ASMEND
	;;#ASMSTART
	
 v_dot2c_f32_f16_dpp v51, v15, v93 dpp8:[0, 0, 0, 0, 0, 0, 0, 0]
	;;#ASMEND
	;;#ASMSTART
	
 v_dot2c_f32_f16_dpp v52, v15, v93 dpp8:[1, 1, 1, 1, 1, 1, 1, 1]
	;;#ASMEND
	;;#ASMSTART
	
 v_dot2c_f32_f16_dpp v53, v15, v93 dpp8:[2, 2, 2, 2, 2, 2, 2, 2]
	;;#ASMEND
	;;#ASMSTART
	
 v_dot2c_f32_f16_dpp v54, v15, v93 dpp8:[3, 3, 3, 3, 3, 3, 3, 3]
	;;#ASMEND
	;;#ASMSTART
	
 v_dot2c_f32_f16_dpp v55, v15, v93 dpp8:[4, 4, 4, 4, 4, 4, 4, 4]
	;;#ASMEND
	;;#ASMSTART
	
 v_dot2c_f32_f16_dpp v56, v15, v93 dpp8:[5, 5, 5, 5, 5, 5, 5, 5]
	;;#ASMEND
	;;#ASMSTART
	
 v_dot2c_f32_f16_dpp v57, v15, v93 dpp8:[6, 6, 6, 6, 6, 6, 6, 6]
	;;#ASMEND
	;;#ASMSTART
	
 v_dot2c_f32_f16_dpp v58, v15, v93 dpp8:[7, 7, 7, 7, 7, 7, 7, 7]
	;;#ASMEND
	;;#ASMSTART
	
 v_dot2c_f32_f16_dpp v51, v16, v94 dpp8:[0, 0, 0, 0, 0, 0, 0, 0]
	;;#ASMEND
	;;#ASMSTART
	
 v_dot2c_f32_f16_dpp v52, v16, v94 dpp8:[1, 1, 1, 1, 1, 1, 1, 1]
	;;#ASMEND
	;;#ASMSTART
	
 v_dot2c_f32_f16_dpp v53, v16, v94 dpp8:[2, 2, 2, 2, 2, 2, 2, 2]
	;;#ASMEND
	;;#ASMSTART
	
 v_dot2c_f32_f16_dpp v54, v16, v94 dpp8:[3, 3, 3, 3, 3, 3, 3, 3]
	;;#ASMEND
	;;#ASMSTART
	
 v_dot2c_f32_f16_dpp v55, v16, v94 dpp8:[4, 4, 4, 4, 4, 4, 4, 4]
	;;#ASMEND
	;;#ASMSTART
	
 v_dot2c_f32_f16_dpp v56, v16, v94 dpp8:[5, 5, 5, 5, 5, 5, 5, 5]
	;;#ASMEND
	;;#ASMSTART
	
 v_dot2c_f32_f16_dpp v57, v16, v94 dpp8:[6, 6, 6, 6, 6, 6, 6, 6]
	;;#ASMEND
	;;#ASMSTART
	
 v_dot2c_f32_f16_dpp v58, v16, v94 dpp8:[7, 7, 7, 7, 7, 7, 7, 7]
	;;#ASMEND
	s_waitcnt lgkmcnt(2)
	;;#ASMSTART
	
 v_dot2c_f32_f16_dpp v51, v9, v95 dpp8:[0, 0, 0, 0, 0, 0, 0, 0]
	;;#ASMEND
	;;#ASMSTART
	
 v_dot2c_f32_f16_dpp v52, v9, v95 dpp8:[1, 1, 1, 1, 1, 1, 1, 1]
	;;#ASMEND
	;; [unrolled: 4-line block ×32, first 2 shown]
	s_waitcnt lgkmcnt(1)
	;;#ASMSTART
	
 v_dot2c_f32_f16_dpp v51, v5, v99 dpp8:[0, 0, 0, 0, 0, 0, 0, 0]
	;;#ASMEND
	;;#ASMSTART
	
 v_dot2c_f32_f16_dpp v52, v5, v99 dpp8:[1, 1, 1, 1, 1, 1, 1, 1]
	;;#ASMEND
	;; [unrolled: 4-line block ×32, first 2 shown]
	s_waitcnt lgkmcnt(0)
	;;#ASMSTART
	
 v_dot2c_f32_f16_dpp v51, v1, v103 dpp8:[0, 0, 0, 0, 0, 0, 0, 0]
	;;#ASMEND
	;;#ASMSTART
	
 v_dot2c_f32_f16_dpp v52, v1, v103 dpp8:[1, 1, 1, 1, 1, 1, 1, 1]
	;;#ASMEND
	;; [unrolled: 4-line block ×32, first 2 shown]
	ds_read2_b32 v[79:80], v28 offset0:60 offset1:125
	ds_read2_b32 v[81:82], v28 offset0:190 offset1:255
	;; [unrolled: 1-line block ×12, first 2 shown]
	v_mov_b32_e32 v59, 0
	ds_read2_b32 v[28:29], v23 offset0:84 offset1:149
	ds_read2_b32 v[26:27], v60 offset0:86 offset1:151
	v_mov_b32_e32 v60, 0
	v_mov_b32_e32 v61, 0
	ds_read2_b32 v[24:25], v22 offset0:88 offset1:153
	ds_read2_b32 v[22:23], v62 offset0:90 offset1:155
	v_mov_b32_e32 v62, 0
	v_mov_b32_e32 v63, 0
	;; [unrolled: 1-line block ×5, first 2 shown]
	s_waitcnt lgkmcnt(15)
	;;#ASMSTART
	
 v_dot2c_f32_f16_dpp v59, v67, v79 dpp8:[0, 0, 0, 0, 0, 0, 0, 0]
	;;#ASMEND
	;;#ASMSTART
	
 v_dot2c_f32_f16_dpp v60, v67, v79 dpp8:[1, 1, 1, 1, 1, 1, 1, 1]
	;;#ASMEND
	;;#ASMSTART
	
 v_dot2c_f32_f16_dpp v61, v67, v79 dpp8:[2, 2, 2, 2, 2, 2, 2, 2]
	;;#ASMEND
	;;#ASMSTART
	
 v_dot2c_f32_f16_dpp v62, v67, v79 dpp8:[3, 3, 3, 3, 3, 3, 3, 3]
	;;#ASMEND
	;;#ASMSTART
	
 v_dot2c_f32_f16_dpp v63, v67, v79 dpp8:[4, 4, 4, 4, 4, 4, 4, 4]
	;;#ASMEND
	;;#ASMSTART
	
 v_dot2c_f32_f16_dpp v64, v67, v79 dpp8:[5, 5, 5, 5, 5, 5, 5, 5]
	;;#ASMEND
	;;#ASMSTART
	
 v_dot2c_f32_f16_dpp v65, v67, v79 dpp8:[6, 6, 6, 6, 6, 6, 6, 6]
	;;#ASMEND
	;;#ASMSTART
	
 v_dot2c_f32_f16_dpp v66, v67, v79 dpp8:[7, 7, 7, 7, 7, 7, 7, 7]
	;;#ASMEND
	;;#ASMSTART
	
 v_dot2c_f32_f16_dpp v59, v68, v80 dpp8:[0, 0, 0, 0, 0, 0, 0, 0]
	;;#ASMEND
	;;#ASMSTART
	
 v_dot2c_f32_f16_dpp v60, v68, v80 dpp8:[1, 1, 1, 1, 1, 1, 1, 1]
	;;#ASMEND
	;;#ASMSTART
	
 v_dot2c_f32_f16_dpp v61, v68, v80 dpp8:[2, 2, 2, 2, 2, 2, 2, 2]
	;;#ASMEND
	;;#ASMSTART
	
 v_dot2c_f32_f16_dpp v62, v68, v80 dpp8:[3, 3, 3, 3, 3, 3, 3, 3]
	;;#ASMEND
	;;#ASMSTART
	
 v_dot2c_f32_f16_dpp v63, v68, v80 dpp8:[4, 4, 4, 4, 4, 4, 4, 4]
	;;#ASMEND
	;;#ASMSTART
	
 v_dot2c_f32_f16_dpp v64, v68, v80 dpp8:[5, 5, 5, 5, 5, 5, 5, 5]
	;;#ASMEND
	;;#ASMSTART
	
 v_dot2c_f32_f16_dpp v65, v68, v80 dpp8:[6, 6, 6, 6, 6, 6, 6, 6]
	;;#ASMEND
	;;#ASMSTART
	
 v_dot2c_f32_f16_dpp v66, v68, v80 dpp8:[7, 7, 7, 7, 7, 7, 7, 7]
	;;#ASMEND
	s_waitcnt lgkmcnt(14)
	;;#ASMSTART
	
 v_dot2c_f32_f16_dpp v59, v69, v81 dpp8:[0, 0, 0, 0, 0, 0, 0, 0]
	;;#ASMEND
	;;#ASMSTART
	
 v_dot2c_f32_f16_dpp v60, v69, v81 dpp8:[1, 1, 1, 1, 1, 1, 1, 1]
	;;#ASMEND
	;; [unrolled: 4-line block ×16, first 2 shown]
	s_waitcnt lgkmcnt(13)
	;;#ASMSTART
	
 v_dot2c_f32_f16_dpp v59, v71, v83 dpp8:[0, 0, 0, 0, 0, 0, 0, 0]
	;;#ASMEND
	;;#ASMSTART
	
 v_dot2c_f32_f16_dpp v60, v71, v83 dpp8:[1, 1, 1, 1, 1, 1, 1, 1]
	;;#ASMEND
	;; [unrolled: 4-line block ×16, first 2 shown]
	s_waitcnt lgkmcnt(12)
	;;#ASMSTART
	
 v_dot2c_f32_f16_dpp v59, v73, v85 dpp8:[0, 0, 0, 0, 0, 0, 0, 0]
	;;#ASMEND
	;;#ASMSTART
	
 v_dot2c_f32_f16_dpp v60, v73, v85 dpp8:[1, 1, 1, 1, 1, 1, 1, 1]
	;;#ASMEND
	;; [unrolled: 4-line block ×16, first 2 shown]
	s_waitcnt lgkmcnt(11)
	;;#ASMSTART
	
 v_dot2c_f32_f16_dpp v59, v75, v87 dpp8:[0, 0, 0, 0, 0, 0, 0, 0]
	;;#ASMEND
	;;#ASMSTART
	
 v_dot2c_f32_f16_dpp v60, v75, v87 dpp8:[1, 1, 1, 1, 1, 1, 1, 1]
	;;#ASMEND
	;; [unrolled: 4-line block ×16, first 2 shown]
	s_waitcnt lgkmcnt(10)
	;;#ASMSTART
	
 v_dot2c_f32_f16_dpp v59, v77, v89 dpp8:[0, 0, 0, 0, 0, 0, 0, 0]
	;;#ASMEND
	;;#ASMSTART
	
 v_dot2c_f32_f16_dpp v60, v77, v89 dpp8:[1, 1, 1, 1, 1, 1, 1, 1]
	;;#ASMEND
	;; [unrolled: 4-line block ×16, first 2 shown]
	s_waitcnt lgkmcnt(9)
	;;#ASMSTART
	
 v_dot2c_f32_f16_dpp v59, v17, v91 dpp8:[0, 0, 0, 0, 0, 0, 0, 0]
	;;#ASMEND
	;;#ASMSTART
	
 v_dot2c_f32_f16_dpp v60, v17, v91 dpp8:[1, 1, 1, 1, 1, 1, 1, 1]
	;;#ASMEND
	;; [unrolled: 4-line block ×16, first 2 shown]
	s_waitcnt lgkmcnt(8)
	;;#ASMSTART
	
 v_dot2c_f32_f16_dpp v59, v19, v93 dpp8:[0, 0, 0, 0, 0, 0, 0, 0]
	;;#ASMEND
	;;#ASMSTART
	
 v_dot2c_f32_f16_dpp v60, v19, v93 dpp8:[1, 1, 1, 1, 1, 1, 1, 1]
	;;#ASMEND
	;; [unrolled: 4-line block ×16, first 2 shown]
	s_waitcnt lgkmcnt(7)
	;;#ASMSTART
	
 v_dot2c_f32_f16_dpp v59, v13, v95 dpp8:[0, 0, 0, 0, 0, 0, 0, 0]
	;;#ASMEND
	;;#ASMSTART
	
 v_dot2c_f32_f16_dpp v60, v13, v95 dpp8:[1, 1, 1, 1, 1, 1, 1, 1]
	;;#ASMEND
	;; [unrolled: 4-line block ×16, first 2 shown]
	s_waitcnt lgkmcnt(6)
	;;#ASMSTART
	
 v_dot2c_f32_f16_dpp v59, v15, v97 dpp8:[0, 0, 0, 0, 0, 0, 0, 0]
	;;#ASMEND
	;;#ASMSTART
	
 v_dot2c_f32_f16_dpp v60, v15, v97 dpp8:[1, 1, 1, 1, 1, 1, 1, 1]
	;;#ASMEND
	;; [unrolled: 4-line block ×16, first 2 shown]
	s_waitcnt lgkmcnt(5)
	;;#ASMSTART
	
 v_dot2c_f32_f16_dpp v59, v9, v32 dpp8:[0, 0, 0, 0, 0, 0, 0, 0]
	;;#ASMEND
	;;#ASMSTART
	
 v_dot2c_f32_f16_dpp v60, v9, v32 dpp8:[1, 1, 1, 1, 1, 1, 1, 1]
	;;#ASMEND
	;; [unrolled: 4-line block ×16, first 2 shown]
	s_waitcnt lgkmcnt(4)
	;;#ASMSTART
	
 v_dot2c_f32_f16_dpp v59, v11, v30 dpp8:[0, 0, 0, 0, 0, 0, 0, 0]
	;;#ASMEND
	;;#ASMSTART
	
 v_dot2c_f32_f16_dpp v60, v11, v30 dpp8:[1, 1, 1, 1, 1, 1, 1, 1]
	;;#ASMEND
	;; [unrolled: 4-line block ×16, first 2 shown]
	s_waitcnt lgkmcnt(3)
	;;#ASMSTART
	
 v_dot2c_f32_f16_dpp v59, v5, v28 dpp8:[0, 0, 0, 0, 0, 0, 0, 0]
	;;#ASMEND
	;;#ASMSTART
	
 v_dot2c_f32_f16_dpp v60, v5, v28 dpp8:[1, 1, 1, 1, 1, 1, 1, 1]
	;;#ASMEND
	;;#ASMSTART
	
 v_dot2c_f32_f16_dpp v61, v5, v28 dpp8:[2, 2, 2, 2, 2, 2, 2, 2]
	;;#ASMEND
	;;#ASMSTART
	
 v_dot2c_f32_f16_dpp v62, v5, v28 dpp8:[3, 3, 3, 3, 3, 3, 3, 3]
	;;#ASMEND
	;;#ASMSTART
	
 v_dot2c_f32_f16_dpp v63, v5, v28 dpp8:[4, 4, 4, 4, 4, 4, 4, 4]
	;;#ASMEND
	;;#ASMSTART
	
 v_dot2c_f32_f16_dpp v64, v5, v28 dpp8:[5, 5, 5, 5, 5, 5, 5, 5]
	;;#ASMEND
	;;#ASMSTART
	
 v_dot2c_f32_f16_dpp v65, v5, v28 dpp8:[6, 6, 6, 6, 6, 6, 6, 6]
	;;#ASMEND
	;;#ASMSTART
	
 v_dot2c_f32_f16_dpp v66, v5, v28 dpp8:[7, 7, 7, 7, 7, 7, 7, 7]
	;;#ASMEND
	;;#ASMSTART
	
 v_dot2c_f32_f16_dpp v59, v6, v29 dpp8:[0, 0, 0, 0, 0, 0, 0, 0]
	;;#ASMEND
	;;#ASMSTART
	
 v_dot2c_f32_f16_dpp v60, v6, v29 dpp8:[1, 1, 1, 1, 1, 1, 1, 1]
	;;#ASMEND
	;;#ASMSTART
	
 v_dot2c_f32_f16_dpp v61, v6, v29 dpp8:[2, 2, 2, 2, 2, 2, 2, 2]
	;;#ASMEND
	;;#ASMSTART
	
 v_dot2c_f32_f16_dpp v62, v6, v29 dpp8:[3, 3, 3, 3, 3, 3, 3, 3]
	;;#ASMEND
	;;#ASMSTART
	
 v_dot2c_f32_f16_dpp v63, v6, v29 dpp8:[4, 4, 4, 4, 4, 4, 4, 4]
	;;#ASMEND
	;;#ASMSTART
	
 v_dot2c_f32_f16_dpp v64, v6, v29 dpp8:[5, 5, 5, 5, 5, 5, 5, 5]
	;;#ASMEND
	;;#ASMSTART
	
 v_dot2c_f32_f16_dpp v65, v6, v29 dpp8:[6, 6, 6, 6, 6, 6, 6, 6]
	;;#ASMEND
	;;#ASMSTART
	
 v_dot2c_f32_f16_dpp v66, v6, v29 dpp8:[7, 7, 7, 7, 7, 7, 7, 7]
	;;#ASMEND
	s_waitcnt lgkmcnt(2)
	;;#ASMSTART
	
 v_dot2c_f32_f16_dpp v59, v7, v26 dpp8:[0, 0, 0, 0, 0, 0, 0, 0]
	;;#ASMEND
	;;#ASMSTART
	
 v_dot2c_f32_f16_dpp v60, v7, v26 dpp8:[1, 1, 1, 1, 1, 1, 1, 1]
	;;#ASMEND
	;; [unrolled: 4-line block ×16, first 2 shown]
	s_waitcnt lgkmcnt(1)
	;;#ASMSTART
	
 v_dot2c_f32_f16_dpp v59, v1, v24 dpp8:[0, 0, 0, 0, 0, 0, 0, 0]
	;;#ASMEND
	;;#ASMSTART
	
 v_dot2c_f32_f16_dpp v60, v1, v24 dpp8:[1, 1, 1, 1, 1, 1, 1, 1]
	;;#ASMEND
	;; [unrolled: 4-line block ×8, first 2 shown]
	v_or_b32_e32 v1, s19, v50
	;;#ASMSTART
	
 v_dot2c_f32_f16_dpp v59, v2, v25 dpp8:[0, 0, 0, 0, 0, 0, 0, 0]
	;;#ASMEND
	;;#ASMSTART
	
 v_dot2c_f32_f16_dpp v60, v2, v25 dpp8:[1, 1, 1, 1, 1, 1, 1, 1]
	;;#ASMEND
	;; [unrolled: 4-line block ×4, first 2 shown]
	v_lshrrev_b32_e32 v1, 5, v1
	;;#ASMSTART
	
 v_dot2c_f32_f16_dpp v63, v2, v25 dpp8:[4, 4, 4, 4, 4, 4, 4, 4]
	;;#ASMEND
	;;#ASMSTART
	
 v_dot2c_f32_f16_dpp v64, v2, v25 dpp8:[5, 5, 5, 5, 5, 5, 5, 5]
	;;#ASMEND
	;; [unrolled: 4-line block ×4, first 2 shown]
	s_waitcnt lgkmcnt(0)
	;;#ASMSTART
	
 v_dot2c_f32_f16_dpp v59, v3, v22 dpp8:[0, 0, 0, 0, 0, 0, 0, 0]
	;;#ASMEND
	;;#ASMSTART
	
 v_dot2c_f32_f16_dpp v60, v3, v22 dpp8:[1, 1, 1, 1, 1, 1, 1, 1]
	;;#ASMEND
	;; [unrolled: 4-line block ×8, first 2 shown]
	v_mul_lo_u32 v3, v1, s18
	s_lshr_b32 s0, s6, 5
	;;#ASMSTART
	
 v_dot2c_f32_f16_dpp v59, v4, v23 dpp8:[0, 0, 0, 0, 0, 0, 0, 0]
	;;#ASMEND
	v_mad_u64_u32 v[1:2], null, s0, s10, v[21:22]
	;;#ASMSTART
	
 v_dot2c_f32_f16_dpp v60, v4, v23 dpp8:[1, 1, 1, 1, 1, 1, 1, 1]
	;;#ASMEND
	;;#ASMSTART
	
 v_dot2c_f32_f16_dpp v61, v4, v23 dpp8:[2, 2, 2, 2, 2, 2, 2, 2]
	;;#ASMEND
	;; [unrolled: 4-line block ×3, first 2 shown]
	v_and_or_b32 v0, v0, 24, v3
	;;#ASMSTART
	
 v_dot2c_f32_f16_dpp v63, v4, v23 dpp8:[4, 4, 4, 4, 4, 4, 4, 4]
	;;#ASMEND
	;;#ASMSTART
	
 v_dot2c_f32_f16_dpp v64, v4, v23 dpp8:[5, 5, 5, 5, 5, 5, 5, 5]
	;;#ASMEND
	v_cmp_gt_i32_e32 vcc_lo, s9, v1
	;;#ASMSTART
	
 v_dot2c_f32_f16_dpp v65, v4, v23 dpp8:[6, 6, 6, 6, 6, 6, 6, 6]
	;;#ASMEND
	v_cmp_gt_i32_e64 s1, s8, v0
	v_mad_u64_u32 v[2:3], null, v0, s17, v[1:2]
	v_add_nc_u32_e32 v1, s10, v1
	;;#ASMSTART
	
 v_dot2c_f32_f16_dpp v66, v4, v23 dpp8:[7, 7, 7, 7, 7, 7, 7, 7]
	;;#ASMEND
	v_or_b32_e32 v4, 1, v0
	s_and_b32 s0, s1, vcc_lo
	v_cvt_f16_f32_e32 v3, v49
	v_cndmask_b32_e64 v5, 0x80000000, 0, s0
	v_cmp_gt_i32_e64 s0, s9, v1
	v_cmp_gt_i32_e64 s2, s8, v4
	v_add_nc_u32_e32 v1, s10, v2
	s_lshl_b32 s6, s7, 1
	v_lshl_add_u32 v4, v2, 1, v5
	s_and_b32 s1, s1, s0
	s_mov_b32 s7, s3
	v_cndmask_b32_e64 v5, 0x80000000, 0, s1
	s_and_b32 s1, s2, s0
	v_add_nc_u32_e32 v6, s17, v1
	v_cndmask_b32_e64 v7, 0x80000000, 0, s1
	buffer_store_short v3, v4, s[4:7], 0 offen
	v_lshl_add_u32 v1, v1, 1, v5
	v_cvt_f16_f32_e32 v3, v48
	v_cvt_f16_f32_e32 v4, v47
	v_lshl_add_u32 v5, v6, 1, v7
	v_or_b32_e32 v7, 2, v0
	s_and_b32 s1, vcc_lo, s2
	v_add_nc_u32_e32 v2, s17, v2
	v_cndmask_b32_e64 v8, 0x80000000, 0, s1
	buffer_store_short v3, v1, s[4:7], 0 offen
	v_cmp_gt_i32_e64 s1, s8, v7
	buffer_store_short v4, v5, s[4:7], 0 offen
	v_or_b32_e32 v4, 3, v0
	v_cvt_f16_f32_e32 v1, v46
	v_lshl_add_u32 v3, v2, 1, v8
	s_and_b32 s2, vcc_lo, s1
	v_add_nc_u32_e32 v2, s17, v2
	v_cndmask_b32_e64 v5, 0x80000000, 0, s2
	v_cmp_gt_i32_e64 s2, s8, v4
	buffer_store_short v1, v3, s[4:7], 0 offen
	v_add_nc_u32_e32 v3, s17, v6
	s_and_b32 s1, s1, s0
	v_cvt_f16_f32_e32 v1, v45
	v_cndmask_b32_e64 v4, 0x80000000, 0, s1
	s_and_b32 s1, s2, s0
	v_lshl_add_u32 v2, v2, 1, v5
	v_add_nc_u32_e32 v5, s17, v3
	v_cndmask_b32_e64 v6, 0x80000000, 0, s1
	s_and_b32 s1, vcc_lo, s2
	v_cvt_f16_f32_e32 v10, v36
	buffer_store_short v1, v2, s[4:7], 0 offen
	v_lshl_add_u32 v2, v3, 1, v4
	v_lshl_add_u32 v4, v5, 1, v6
	v_or_b32_e32 v6, 4, v0
	v_cndmask_b32_e64 v8, 0x80000000, 0, s1
	v_cvt_f16_f32_e32 v1, v43
	v_cvt_f16_f32_e32 v3, v44
	v_subrev_nc_u32_e32 v7, s10, v5
	v_cmp_gt_i32_e64 s1, s8, v6
	buffer_store_short v1, v2, s[4:7], 0 offen
	buffer_store_short v3, v4, s[4:7], 0 offen
	v_cvt_f16_f32_e32 v1, v42
	s_and_b32 s2, vcc_lo, s1
	v_lshl_add_u32 v2, v7, 1, v8
	v_or_b32_e32 v3, 5, v0
	v_add_nc_u32_e32 v4, s17, v7
	v_cndmask_b32_e64 v6, 0x80000000, 0, s2
	s_and_b32 s1, s1, s0
	buffer_store_short v1, v2, s[4:7], 0 offen
	v_cvt_f16_f32_e32 v1, v41
	v_add_nc_u32_e32 v2, s17, v5
	v_cmp_gt_i32_e64 s2, s8, v3
	v_lshl_add_u32 v3, v4, 1, v6
	v_cndmask_b32_e64 v4, 0x80000000, 0, s1
	v_add_nc_u32_e32 v5, s17, v2
	s_and_b32 s1, s2, s0
	buffer_store_short v1, v3, s[4:7], 0 offen
	v_cvt_f16_f32_e32 v1, v40
	v_lshl_add_u32 v2, v2, 1, v4
	v_cndmask_b32_e64 v6, 0x80000000, 0, s1
	s_and_b32 s1, vcc_lo, s2
	v_cvt_f16_f32_e32 v3, v39
	v_cndmask_b32_e64 v7, 0x80000000, 0, s1
	buffer_store_short v1, v2, s[4:7], 0 offen
	v_or_b32_e32 v1, 6, v0
	v_or_b32_e32 v0, 7, v0
	v_lshl_add_u32 v4, v5, 1, v6
	v_subrev_nc_u32_e32 v6, s10, v5
	v_add_nc_u32_e32 v5, s17, v5
	v_cmp_gt_i32_e64 s1, s8, v1
	v_cmp_gt_i32_e64 s2, s8, v0
	buffer_store_short v3, v4, s[4:7], 0 offen
	v_lshl_add_u32 v3, v6, 1, v7
	v_add_nc_u32_e32 v1, s17, v6
	s_and_b32 s3, vcc_lo, s1
	s_and_b32 s1, s1, s0
	v_cndmask_b32_e64 v6, 0x80000000, 0, s3
	v_cndmask_b32_e64 v7, 0x80000000, 0, s1
	s_and_b32 s1, s2, s0
	v_add_nc_u32_e32 v8, s17, v5
	v_cndmask_b32_e64 v9, 0x80000000, 0, s1
	v_add_nc_u32_e32 v0, s18, v0
	v_cvt_f16_f32_e32 v2, v38
	v_cvt_f16_f32_e32 v4, v37
	v_lshl_add_u32 v1, v1, 1, v6
	v_cvt_f16_f32_e32 v6, v35
	v_lshl_add_u32 v7, v5, 1, v7
	v_lshl_add_u32 v9, v8, 1, v9
	v_cmp_gt_i32_e64 s1, s8, v0
	buffer_store_short v2, v3, s[4:7], 0 offen
	buffer_store_short v4, v1, s[4:7], 0 offen
	;; [unrolled: 1-line block ×4, first 2 shown]
	v_subrev_nc_u32_e32 v1, s10, v8
	s_and_b32 s2, vcc_lo, s2
	s_mul_i32 s18, s18, s17
	v_cndmask_b32_e64 v3, 0x80000000, 0, s2
	s_and_b32 s2, vcc_lo, s1
	v_add_nc_u32_e32 v4, s18, v1
	v_cndmask_b32_e64 v6, 0x80000000, 0, s2
	s_and_b32 s1, s0, s1
	v_cvt_f16_f32_e32 v2, v34
	v_add_nc_u32_e32 v7, s18, v8
	v_cndmask_b32_e64 v8, 0x80000000, 0, s1
	v_lshl_add_u32 v1, v1, 1, v3
	v_cmp_ge_i32_e64 s1, s8, v0
	v_cvt_f16_f32_e32 v3, v58
	v_lshl_add_u32 v4, v4, 1, v6
	buffer_store_short v2, v1, s[4:7], 0 offen
	buffer_store_short v3, v4, s[4:7], 0 offen
	v_add_nc_u32_e32 v2, -1, v0
	s_and_b32 s2, s0, s1
	v_cvt_f16_f32_e32 v6, v66
	v_lshl_add_u32 v7, v7, 1, v8
	v_add_nc_u32_e32 v1, s18, v5
	v_cndmask_b32_e64 v3, 0x80000000, 0, s2
	s_and_b32 s1, vcc_lo, s1
	v_add_nc_u32_e32 v8, -5, v0
	v_cndmask_b32_e64 v5, 0x80000000, 0, s1
	v_cmp_ge_i32_e64 s1, s8, v2
	buffer_store_short v6, v7, s[4:7], 0 offen
	v_subrev_nc_u32_e32 v4, s10, v1
	v_cvt_f16_f32_e32 v6, v65
	v_lshl_add_u32 v1, v1, 1, v3
	v_add_nc_u32_e32 v3, -2, v0
	s_and_b32 s1, vcc_lo, s1
	v_cvt_f16_f32_e32 v7, v57
	v_cndmask_b32_e64 v2, 0x80000000, 0, s1
	buffer_store_short v6, v1, s[4:7], 0 offen
	v_subrev_nc_u32_e32 v1, s17, v4
	v_cmp_gt_i32_e64 s2, s8, v3
	v_lshl_add_u32 v5, v4, 1, v5
	v_cvt_f16_f32_e32 v6, v56
	v_add_nc_u32_e32 v4, s10, v1
	s_and_b32 s1, s0, s2
	v_lshl_add_u32 v1, v1, 1, v2
	v_add_nc_u32_e32 v2, -3, v0
	buffer_store_short v7, v5, s[4:7], 0 offen
	v_cndmask_b32_e64 v5, 0x80000000, 0, s1
	v_cmp_ge_i32_e64 s1, s8, v3
	v_cvt_f16_f32_e32 v7, v64
	v_cmp_gt_i32_e64 s2, s8, v2
	buffer_store_short v6, v1, s[4:7], 0 offen
	v_lshl_add_u32 v5, v4, 1, v5
	v_subrev_nc_u32_e32 v1, s17, v4
	s_and_b32 s1, s0, s1
	v_cvt_f16_f32_e32 v6, v63
	v_cndmask_b32_e64 v3, 0x80000000, 0, s1
	s_and_b32 s1, vcc_lo, s2
	buffer_store_short v7, v5, s[4:7], 0 offen
	v_subrev_nc_u32_e32 v4, s10, v1
	v_cndmask_b32_e64 v5, 0x80000000, 0, s1
	v_cmp_ge_i32_e64 s1, s8, v2
	v_lshl_add_u32 v1, v1, 1, v3
	v_cvt_f16_f32_e32 v2, v55
	v_lshl_add_u32 v3, v4, 1, v5
	v_add_nc_u32_e32 v5, -4, v0
	s_and_b32 s1, vcc_lo, s1
	v_subrev_nc_u32_e32 v4, s17, v4
	v_cndmask_b32_e64 v7, 0x80000000, 0, s1
	buffer_store_short v6, v1, s[4:7], 0 offen
	buffer_store_short v2, v3, s[4:7], 0 offen
	v_cmp_gt_i32_e64 s1, s8, v5
	v_cmp_ge_i32_e64 s2, s8, v5
	v_add_nc_u32_e32 v3, s10, v4
	v_cvt_f16_f32_e32 v1, v54
	v_lshl_add_u32 v2, v4, 1, v7
	s_and_b32 s1, s0, s1
	v_cvt_f16_f32_e32 v4, v62
	v_cndmask_b32_e64 v5, 0x80000000, 0, s1
	s_and_b32 s1, s0, s2
	v_subrev_nc_u32_e32 v6, s17, v3
	v_cndmask_b32_e64 v7, 0x80000000, 0, s1
	v_cmp_gt_i32_e64 s1, s8, v8
	v_lshl_add_u32 v3, v3, 1, v5
	buffer_store_short v1, v2, s[4:7], 0 offen
	v_cvt_f16_f32_e32 v1, v61
	v_lshl_add_u32 v2, v6, 1, v7
	v_cmp_ge_i32_e64 s2, s8, v8
	s_and_b32 s1, vcc_lo, s1
	buffer_store_short v4, v3, s[4:7], 0 offen
	v_subrev_nc_u32_e32 v3, s10, v6
	buffer_store_short v1, v2, s[4:7], 0 offen
	v_cndmask_b32_e64 v1, 0x80000000, 0, s1
	s_and_b32 s1, vcc_lo, s2
	v_cvt_f16_f32_e32 v5, v53
	v_subrev_nc_u32_e32 v2, s17, v3
	v_cndmask_b32_e64 v4, 0x80000000, 0, s1
	v_lshl_add_u32 v1, v3, 1, v1
	v_add_nc_u32_e32 v3, -6, v0
	v_add_nc_u32_e32 v0, -7, v0
	v_cvt_f16_f32_e32 v6, v52
	v_lshl_add_u32 v4, v2, 1, v4
	v_add_nc_u32_e32 v2, s10, v2
	v_cmp_gt_i32_e64 s1, s8, v3
	v_cmp_ge_i32_e64 s2, s8, v3
	v_cmp_gt_i32_e64 s3, s8, v0
	v_cvt_f16_f32_e32 v3, v60
	v_subrev_nc_u32_e32 v7, s17, v2
	s_and_b32 s1, s0, s1
	s_and_b32 s0, s0, s2
	v_cndmask_b32_e64 v0, 0x80000000, 0, s1
	v_cndmask_b32_e64 v8, 0x80000000, 0, s0
	s_and_b32 s0, vcc_lo, s3
	v_subrev_nc_u32_e32 v9, s10, v7
	v_cndmask_b32_e64 v10, 0x80000000, 0, s0
	v_lshl_add_u32 v0, v2, 1, v0
	v_cvt_f16_f32_e32 v2, v59
	v_lshl_add_u32 v7, v7, 1, v8
	v_cvt_f16_f32_e32 v8, v51
	v_lshl_add_u32 v9, v9, 1, v10
	buffer_store_short v5, v1, s[4:7], 0 offen
	buffer_store_short v6, v4, s[4:7], 0 offen
	;; [unrolled: 1-line block ×5, first 2 shown]
	s_endpgm
	.section	.rodata,"a",@progbits
	.p2align	6, 0x0
	.amdhsa_kernel _ZN2ck15kernel_gemm_dppINS_35GridwiseGemm_ak0mak1_bk0nbk1_mn_dppILi128EDF16_fDF16_LNS_25InMemoryDataOperationEnumE0ENS_13tensor_layout4gemm8RowMajorENS4_11ColumnMajorES5_NS_16tensor_operation12element_wise11PassThroughES9_S9_LNS7_6device18GemmSpecializationE4ELi64ELi64ELi64ELi32ELi8ELi8ELi2ELi2ELi2ENS_8SequenceIJLi4ELi32ELi1EEEENSC_IJLi1ELi0ELi2EEEESE_Li2ELi8ELi8ELb0ELb1ESD_SE_SE_Li2ELi2ELi2ELb0ELb1ENSC_IJLi0ELi2ELi4ELi1ELi3ELi5EEEELi5ELi1ELi1ELNS_15PipelineVersionE0EEELb0EEEvNT_8ArgumentE
		.amdhsa_group_segment_fixed_size 16624
		.amdhsa_private_segment_fixed_size 0
		.amdhsa_kernarg_size 80
		.amdhsa_user_sgpr_count 6
		.amdhsa_user_sgpr_private_segment_buffer 1
		.amdhsa_user_sgpr_dispatch_ptr 0
		.amdhsa_user_sgpr_queue_ptr 0
		.amdhsa_user_sgpr_kernarg_segment_ptr 1
		.amdhsa_user_sgpr_dispatch_id 0
		.amdhsa_user_sgpr_flat_scratch_init 0
		.amdhsa_user_sgpr_private_segment_size 0
		.amdhsa_wavefront_size32 1
		.amdhsa_uses_dynamic_stack 0
		.amdhsa_system_sgpr_private_segment_wavefront_offset 0
		.amdhsa_system_sgpr_workgroup_id_x 1
		.amdhsa_system_sgpr_workgroup_id_y 0
		.amdhsa_system_sgpr_workgroup_id_z 0
		.amdhsa_system_sgpr_workgroup_info 0
		.amdhsa_system_vgpr_workitem_id 0
		.amdhsa_next_free_vgpr 107
		.amdhsa_next_free_sgpr 21
		.amdhsa_reserve_vcc 1
		.amdhsa_reserve_flat_scratch 0
		.amdhsa_float_round_mode_32 0
		.amdhsa_float_round_mode_16_64 0
		.amdhsa_float_denorm_mode_32 3
		.amdhsa_float_denorm_mode_16_64 3
		.amdhsa_dx10_clamp 1
		.amdhsa_ieee_mode 1
		.amdhsa_fp16_overflow 0
		.amdhsa_workgroup_processor_mode 1
		.amdhsa_memory_ordered 1
		.amdhsa_forward_progress 1
		.amdhsa_shared_vgpr_count 0
		.amdhsa_exception_fp_ieee_invalid_op 0
		.amdhsa_exception_fp_denorm_src 0
		.amdhsa_exception_fp_ieee_div_zero 0
		.amdhsa_exception_fp_ieee_overflow 0
		.amdhsa_exception_fp_ieee_underflow 0
		.amdhsa_exception_fp_ieee_inexact 0
		.amdhsa_exception_int_div_zero 0
	.end_amdhsa_kernel
	.section	.text._ZN2ck15kernel_gemm_dppINS_35GridwiseGemm_ak0mak1_bk0nbk1_mn_dppILi128EDF16_fDF16_LNS_25InMemoryDataOperationEnumE0ENS_13tensor_layout4gemm8RowMajorENS4_11ColumnMajorES5_NS_16tensor_operation12element_wise11PassThroughES9_S9_LNS7_6device18GemmSpecializationE4ELi64ELi64ELi64ELi32ELi8ELi8ELi2ELi2ELi2ENS_8SequenceIJLi4ELi32ELi1EEEENSC_IJLi1ELi0ELi2EEEESE_Li2ELi8ELi8ELb0ELb1ESD_SE_SE_Li2ELi2ELi2ELb0ELb1ENSC_IJLi0ELi2ELi4ELi1ELi3ELi5EEEELi5ELi1ELi1ELNS_15PipelineVersionE0EEELb0EEEvNT_8ArgumentE,"axG",@progbits,_ZN2ck15kernel_gemm_dppINS_35GridwiseGemm_ak0mak1_bk0nbk1_mn_dppILi128EDF16_fDF16_LNS_25InMemoryDataOperationEnumE0ENS_13tensor_layout4gemm8RowMajorENS4_11ColumnMajorES5_NS_16tensor_operation12element_wise11PassThroughES9_S9_LNS7_6device18GemmSpecializationE4ELi64ELi64ELi64ELi32ELi8ELi8ELi2ELi2ELi2ENS_8SequenceIJLi4ELi32ELi1EEEENSC_IJLi1ELi0ELi2EEEESE_Li2ELi8ELi8ELb0ELb1ESD_SE_SE_Li2ELi2ELi2ELb0ELb1ENSC_IJLi0ELi2ELi4ELi1ELi3ELi5EEEELi5ELi1ELi1ELNS_15PipelineVersionE0EEELb0EEEvNT_8ArgumentE,comdat
.Lfunc_end2:
	.size	_ZN2ck15kernel_gemm_dppINS_35GridwiseGemm_ak0mak1_bk0nbk1_mn_dppILi128EDF16_fDF16_LNS_25InMemoryDataOperationEnumE0ENS_13tensor_layout4gemm8RowMajorENS4_11ColumnMajorES5_NS_16tensor_operation12element_wise11PassThroughES9_S9_LNS7_6device18GemmSpecializationE4ELi64ELi64ELi64ELi32ELi8ELi8ELi2ELi2ELi2ENS_8SequenceIJLi4ELi32ELi1EEEENSC_IJLi1ELi0ELi2EEEESE_Li2ELi8ELi8ELb0ELb1ESD_SE_SE_Li2ELi2ELi2ELb0ELb1ENSC_IJLi0ELi2ELi4ELi1ELi3ELi5EEEELi5ELi1ELi1ELNS_15PipelineVersionE0EEELb0EEEvNT_8ArgumentE, .Lfunc_end2-_ZN2ck15kernel_gemm_dppINS_35GridwiseGemm_ak0mak1_bk0nbk1_mn_dppILi128EDF16_fDF16_LNS_25InMemoryDataOperationEnumE0ENS_13tensor_layout4gemm8RowMajorENS4_11ColumnMajorES5_NS_16tensor_operation12element_wise11PassThroughES9_S9_LNS7_6device18GemmSpecializationE4ELi64ELi64ELi64ELi32ELi8ELi8ELi2ELi2ELi2ENS_8SequenceIJLi4ELi32ELi1EEEENSC_IJLi1ELi0ELi2EEEESE_Li2ELi8ELi8ELb0ELb1ESD_SE_SE_Li2ELi2ELi2ELb0ELb1ENSC_IJLi0ELi2ELi4ELi1ELi3ELi5EEEELi5ELi1ELi1ELNS_15PipelineVersionE0EEELb0EEEvNT_8ArgumentE
                                        ; -- End function
	.set _ZN2ck15kernel_gemm_dppINS_35GridwiseGemm_ak0mak1_bk0nbk1_mn_dppILi128EDF16_fDF16_LNS_25InMemoryDataOperationEnumE0ENS_13tensor_layout4gemm8RowMajorENS4_11ColumnMajorES5_NS_16tensor_operation12element_wise11PassThroughES9_S9_LNS7_6device18GemmSpecializationE4ELi64ELi64ELi64ELi32ELi8ELi8ELi2ELi2ELi2ENS_8SequenceIJLi4ELi32ELi1EEEENSC_IJLi1ELi0ELi2EEEESE_Li2ELi8ELi8ELb0ELb1ESD_SE_SE_Li2ELi2ELi2ELb0ELb1ENSC_IJLi0ELi2ELi4ELi1ELi3ELi5EEEELi5ELi1ELi1ELNS_15PipelineVersionE0EEELb0EEEvNT_8ArgumentE.num_vgpr, 107
	.set _ZN2ck15kernel_gemm_dppINS_35GridwiseGemm_ak0mak1_bk0nbk1_mn_dppILi128EDF16_fDF16_LNS_25InMemoryDataOperationEnumE0ENS_13tensor_layout4gemm8RowMajorENS4_11ColumnMajorES5_NS_16tensor_operation12element_wise11PassThroughES9_S9_LNS7_6device18GemmSpecializationE4ELi64ELi64ELi64ELi32ELi8ELi8ELi2ELi2ELi2ENS_8SequenceIJLi4ELi32ELi1EEEENSC_IJLi1ELi0ELi2EEEESE_Li2ELi8ELi8ELb0ELb1ESD_SE_SE_Li2ELi2ELi2ELb0ELb1ENSC_IJLi0ELi2ELi4ELi1ELi3ELi5EEEELi5ELi1ELi1ELNS_15PipelineVersionE0EEELb0EEEvNT_8ArgumentE.num_agpr, 0
	.set _ZN2ck15kernel_gemm_dppINS_35GridwiseGemm_ak0mak1_bk0nbk1_mn_dppILi128EDF16_fDF16_LNS_25InMemoryDataOperationEnumE0ENS_13tensor_layout4gemm8RowMajorENS4_11ColumnMajorES5_NS_16tensor_operation12element_wise11PassThroughES9_S9_LNS7_6device18GemmSpecializationE4ELi64ELi64ELi64ELi32ELi8ELi8ELi2ELi2ELi2ENS_8SequenceIJLi4ELi32ELi1EEEENSC_IJLi1ELi0ELi2EEEESE_Li2ELi8ELi8ELb0ELb1ESD_SE_SE_Li2ELi2ELi2ELb0ELb1ENSC_IJLi0ELi2ELi4ELi1ELi3ELi5EEEELi5ELi1ELi1ELNS_15PipelineVersionE0EEELb0EEEvNT_8ArgumentE.numbered_sgpr, 21
	.set _ZN2ck15kernel_gemm_dppINS_35GridwiseGemm_ak0mak1_bk0nbk1_mn_dppILi128EDF16_fDF16_LNS_25InMemoryDataOperationEnumE0ENS_13tensor_layout4gemm8RowMajorENS4_11ColumnMajorES5_NS_16tensor_operation12element_wise11PassThroughES9_S9_LNS7_6device18GemmSpecializationE4ELi64ELi64ELi64ELi32ELi8ELi8ELi2ELi2ELi2ENS_8SequenceIJLi4ELi32ELi1EEEENSC_IJLi1ELi0ELi2EEEESE_Li2ELi8ELi8ELb0ELb1ESD_SE_SE_Li2ELi2ELi2ELb0ELb1ENSC_IJLi0ELi2ELi4ELi1ELi3ELi5EEEELi5ELi1ELi1ELNS_15PipelineVersionE0EEELb0EEEvNT_8ArgumentE.num_named_barrier, 0
	.set _ZN2ck15kernel_gemm_dppINS_35GridwiseGemm_ak0mak1_bk0nbk1_mn_dppILi128EDF16_fDF16_LNS_25InMemoryDataOperationEnumE0ENS_13tensor_layout4gemm8RowMajorENS4_11ColumnMajorES5_NS_16tensor_operation12element_wise11PassThroughES9_S9_LNS7_6device18GemmSpecializationE4ELi64ELi64ELi64ELi32ELi8ELi8ELi2ELi2ELi2ENS_8SequenceIJLi4ELi32ELi1EEEENSC_IJLi1ELi0ELi2EEEESE_Li2ELi8ELi8ELb0ELb1ESD_SE_SE_Li2ELi2ELi2ELb0ELb1ENSC_IJLi0ELi2ELi4ELi1ELi3ELi5EEEELi5ELi1ELi1ELNS_15PipelineVersionE0EEELb0EEEvNT_8ArgumentE.private_seg_size, 0
	.set _ZN2ck15kernel_gemm_dppINS_35GridwiseGemm_ak0mak1_bk0nbk1_mn_dppILi128EDF16_fDF16_LNS_25InMemoryDataOperationEnumE0ENS_13tensor_layout4gemm8RowMajorENS4_11ColumnMajorES5_NS_16tensor_operation12element_wise11PassThroughES9_S9_LNS7_6device18GemmSpecializationE4ELi64ELi64ELi64ELi32ELi8ELi8ELi2ELi2ELi2ENS_8SequenceIJLi4ELi32ELi1EEEENSC_IJLi1ELi0ELi2EEEESE_Li2ELi8ELi8ELb0ELb1ESD_SE_SE_Li2ELi2ELi2ELb0ELb1ENSC_IJLi0ELi2ELi4ELi1ELi3ELi5EEEELi5ELi1ELi1ELNS_15PipelineVersionE0EEELb0EEEvNT_8ArgumentE.uses_vcc, 1
	.set _ZN2ck15kernel_gemm_dppINS_35GridwiseGemm_ak0mak1_bk0nbk1_mn_dppILi128EDF16_fDF16_LNS_25InMemoryDataOperationEnumE0ENS_13tensor_layout4gemm8RowMajorENS4_11ColumnMajorES5_NS_16tensor_operation12element_wise11PassThroughES9_S9_LNS7_6device18GemmSpecializationE4ELi64ELi64ELi64ELi32ELi8ELi8ELi2ELi2ELi2ENS_8SequenceIJLi4ELi32ELi1EEEENSC_IJLi1ELi0ELi2EEEESE_Li2ELi8ELi8ELb0ELb1ESD_SE_SE_Li2ELi2ELi2ELb0ELb1ENSC_IJLi0ELi2ELi4ELi1ELi3ELi5EEEELi5ELi1ELi1ELNS_15PipelineVersionE0EEELb0EEEvNT_8ArgumentE.uses_flat_scratch, 0
	.set _ZN2ck15kernel_gemm_dppINS_35GridwiseGemm_ak0mak1_bk0nbk1_mn_dppILi128EDF16_fDF16_LNS_25InMemoryDataOperationEnumE0ENS_13tensor_layout4gemm8RowMajorENS4_11ColumnMajorES5_NS_16tensor_operation12element_wise11PassThroughES9_S9_LNS7_6device18GemmSpecializationE4ELi64ELi64ELi64ELi32ELi8ELi8ELi2ELi2ELi2ENS_8SequenceIJLi4ELi32ELi1EEEENSC_IJLi1ELi0ELi2EEEESE_Li2ELi8ELi8ELb0ELb1ESD_SE_SE_Li2ELi2ELi2ELb0ELb1ENSC_IJLi0ELi2ELi4ELi1ELi3ELi5EEEELi5ELi1ELi1ELNS_15PipelineVersionE0EEELb0EEEvNT_8ArgumentE.has_dyn_sized_stack, 0
	.set _ZN2ck15kernel_gemm_dppINS_35GridwiseGemm_ak0mak1_bk0nbk1_mn_dppILi128EDF16_fDF16_LNS_25InMemoryDataOperationEnumE0ENS_13tensor_layout4gemm8RowMajorENS4_11ColumnMajorES5_NS_16tensor_operation12element_wise11PassThroughES9_S9_LNS7_6device18GemmSpecializationE4ELi64ELi64ELi64ELi32ELi8ELi8ELi2ELi2ELi2ENS_8SequenceIJLi4ELi32ELi1EEEENSC_IJLi1ELi0ELi2EEEESE_Li2ELi8ELi8ELb0ELb1ESD_SE_SE_Li2ELi2ELi2ELb0ELb1ENSC_IJLi0ELi2ELi4ELi1ELi3ELi5EEEELi5ELi1ELi1ELNS_15PipelineVersionE0EEELb0EEEvNT_8ArgumentE.has_recursion, 0
	.set _ZN2ck15kernel_gemm_dppINS_35GridwiseGemm_ak0mak1_bk0nbk1_mn_dppILi128EDF16_fDF16_LNS_25InMemoryDataOperationEnumE0ENS_13tensor_layout4gemm8RowMajorENS4_11ColumnMajorES5_NS_16tensor_operation12element_wise11PassThroughES9_S9_LNS7_6device18GemmSpecializationE4ELi64ELi64ELi64ELi32ELi8ELi8ELi2ELi2ELi2ENS_8SequenceIJLi4ELi32ELi1EEEENSC_IJLi1ELi0ELi2EEEESE_Li2ELi8ELi8ELb0ELb1ESD_SE_SE_Li2ELi2ELi2ELb0ELb1ENSC_IJLi0ELi2ELi4ELi1ELi3ELi5EEEELi5ELi1ELi1ELNS_15PipelineVersionE0EEELb0EEEvNT_8ArgumentE.has_indirect_call, 0
	.section	.AMDGPU.csdata,"",@progbits
; Kernel info:
; codeLenInByte = 24816
; TotalNumSgprs: 23
; NumVgprs: 107
; ScratchSize: 0
; MemoryBound: 0
; FloatMode: 240
; IeeeMode: 1
; LDSByteSize: 16624 bytes/workgroup (compile time only)
; SGPRBlocks: 0
; VGPRBlocks: 13
; NumSGPRsForWavesPerEU: 23
; NumVGPRsForWavesPerEU: 107
; Occupancy: 9
; WaveLimiterHint : 0
; COMPUTE_PGM_RSRC2:SCRATCH_EN: 0
; COMPUTE_PGM_RSRC2:USER_SGPR: 6
; COMPUTE_PGM_RSRC2:TRAP_HANDLER: 0
; COMPUTE_PGM_RSRC2:TGID_X_EN: 1
; COMPUTE_PGM_RSRC2:TGID_Y_EN: 0
; COMPUTE_PGM_RSRC2:TGID_Z_EN: 0
; COMPUTE_PGM_RSRC2:TIDIG_COMP_CNT: 0
	.section	.text._ZN2ck17naive_gemm_kernelINS_13tensor_layout4gemm8RowMajorENS2_11ColumnMajorES3_DF16_DF16_DF16_fNS_16tensor_operation12element_wise11PassThroughES7_S7_DF16_DF16_EEvPKT2_PKT3_PT4_iiiT6_T7_T8_,"axG",@progbits,_ZN2ck17naive_gemm_kernelINS_13tensor_layout4gemm8RowMajorENS2_11ColumnMajorES3_DF16_DF16_DF16_fNS_16tensor_operation12element_wise11PassThroughES7_S7_DF16_DF16_EEvPKT2_PKT3_PT4_iiiT6_T7_T8_,comdat
	.protected	_ZN2ck17naive_gemm_kernelINS_13tensor_layout4gemm8RowMajorENS2_11ColumnMajorES3_DF16_DF16_DF16_fNS_16tensor_operation12element_wise11PassThroughES7_S7_DF16_DF16_EEvPKT2_PKT3_PT4_iiiT6_T7_T8_ ; -- Begin function _ZN2ck17naive_gemm_kernelINS_13tensor_layout4gemm8RowMajorENS2_11ColumnMajorES3_DF16_DF16_DF16_fNS_16tensor_operation12element_wise11PassThroughES7_S7_DF16_DF16_EEvPKT2_PKT3_PT4_iiiT6_T7_T8_
	.globl	_ZN2ck17naive_gemm_kernelINS_13tensor_layout4gemm8RowMajorENS2_11ColumnMajorES3_DF16_DF16_DF16_fNS_16tensor_operation12element_wise11PassThroughES7_S7_DF16_DF16_EEvPKT2_PKT3_PT4_iiiT6_T7_T8_
	.p2align	8
	.type	_ZN2ck17naive_gemm_kernelINS_13tensor_layout4gemm8RowMajorENS2_11ColumnMajorES3_DF16_DF16_DF16_fNS_16tensor_operation12element_wise11PassThroughES7_S7_DF16_DF16_EEvPKT2_PKT3_PT4_iiiT6_T7_T8_,@function
_ZN2ck17naive_gemm_kernelINS_13tensor_layout4gemm8RowMajorENS2_11ColumnMajorES3_DF16_DF16_DF16_fNS_16tensor_operation12element_wise11PassThroughES7_S7_DF16_DF16_EEvPKT2_PKT3_PT4_iiiT6_T7_T8_: ; @_ZN2ck17naive_gemm_kernelINS_13tensor_layout4gemm8RowMajorENS2_11ColumnMajorES3_DF16_DF16_DF16_fNS_16tensor_operation12element_wise11PassThroughES7_S7_DF16_DF16_EEvPKT2_PKT3_PT4_iiiT6_T7_T8_
; %bb.0:
	s_clause 0x1
	s_load_dword s8, s[4:5], 0x34
	s_load_dwordx4 s[0:3], s[4:5], 0x18
	s_waitcnt lgkmcnt(0)
	s_lshr_b32 s3, s8, 16
	s_and_b32 s8, s8, 0xffff
	v_mad_u64_u32 v[2:3], null, s6, s8, v[0:1]
	v_mad_u64_u32 v[0:1], null, s7, s3, v[1:2]
	v_cmp_gt_i32_e32 vcc_lo, s0, v2
	v_cmp_gt_i32_e64 s0, s1, v0
	s_and_b32 s0, vcc_lo, s0
	s_and_saveexec_b32 s3, s0
	s_cbranch_execz .LBB3_7
; %bb.1:
	s_load_dwordx2 s[6:7], s[4:5], 0x10
	s_cmp_lt_i32 s2, 1
	s_cbranch_scc1 .LBB3_5
; %bb.2:
	s_load_dwordx4 s[8:11], s[4:5], 0x0
	v_mul_lo_u32 v3, v0, s2
	v_mul_lo_u32 v5, v2, s2
	v_mov_b32_e32 v1, 0
	v_ashrrev_i32_e32 v4, 31, v3
	v_ashrrev_i32_e32 v6, 31, v5
	v_lshlrev_b64 v[3:4], 1, v[3:4]
	v_lshlrev_b64 v[5:6], 1, v[5:6]
	s_waitcnt lgkmcnt(0)
	v_add_co_u32 v3, vcc_lo, s10, v3
	v_add_co_ci_u32_e64 v4, null, s11, v4, vcc_lo
	v_add_co_u32 v5, vcc_lo, s8, v5
	v_add_co_ci_u32_e64 v6, null, s9, v6, vcc_lo
	.p2align	6
.LBB3_3:                                ; =>This Inner Loop Header: Depth=1
	global_load_ushort v7, v[5:6], off
	global_load_ushort v8, v[3:4], off
	v_add_co_u32 v3, vcc_lo, v3, 2
	v_add_co_ci_u32_e64 v4, null, 0, v4, vcc_lo
	v_add_co_u32 v5, vcc_lo, v5, 2
	v_add_co_ci_u32_e64 v6, null, 0, v6, vcc_lo
	s_add_i32 s2, s2, -1
	s_cmp_eq_u32 s2, 0
	s_waitcnt vmcnt(0)
	v_fma_mix_f32 v1, v7, v8, v1 op_sel_hi:[1,1,0]
	s_cbranch_scc0 .LBB3_3
; %bb.4:
	v_cvt_f16_f32_e32 v1, v1
	s_branch .LBB3_6
.LBB3_5:
	v_mov_b32_e32 v1, 0
.LBB3_6:
	v_mad_u64_u32 v[2:3], null, v2, s1, v[0:1]
	v_ashrrev_i32_e32 v3, 31, v2
	v_lshlrev_b64 v[2:3], 1, v[2:3]
	s_waitcnt lgkmcnt(0)
	v_add_co_u32 v2, vcc_lo, s6, v2
	v_add_co_ci_u32_e64 v3, null, s7, v3, vcc_lo
	global_store_short v[2:3], v1, off
.LBB3_7:
	s_endpgm
	.section	.rodata,"a",@progbits
	.p2align	6, 0x0
	.amdhsa_kernel _ZN2ck17naive_gemm_kernelINS_13tensor_layout4gemm8RowMajorENS2_11ColumnMajorES3_DF16_DF16_DF16_fNS_16tensor_operation12element_wise11PassThroughES7_S7_DF16_DF16_EEvPKT2_PKT3_PT4_iiiT6_T7_T8_
		.amdhsa_group_segment_fixed_size 0
		.amdhsa_private_segment_fixed_size 0
		.amdhsa_kernarg_size 296
		.amdhsa_user_sgpr_count 6
		.amdhsa_user_sgpr_private_segment_buffer 1
		.amdhsa_user_sgpr_dispatch_ptr 0
		.amdhsa_user_sgpr_queue_ptr 0
		.amdhsa_user_sgpr_kernarg_segment_ptr 1
		.amdhsa_user_sgpr_dispatch_id 0
		.amdhsa_user_sgpr_flat_scratch_init 0
		.amdhsa_user_sgpr_private_segment_size 0
		.amdhsa_wavefront_size32 1
		.amdhsa_uses_dynamic_stack 0
		.amdhsa_system_sgpr_private_segment_wavefront_offset 0
		.amdhsa_system_sgpr_workgroup_id_x 1
		.amdhsa_system_sgpr_workgroup_id_y 1
		.amdhsa_system_sgpr_workgroup_id_z 0
		.amdhsa_system_sgpr_workgroup_info 0
		.amdhsa_system_vgpr_workitem_id 1
		.amdhsa_next_free_vgpr 9
		.amdhsa_next_free_sgpr 12
		.amdhsa_reserve_vcc 1
		.amdhsa_reserve_flat_scratch 0
		.amdhsa_float_round_mode_32 0
		.amdhsa_float_round_mode_16_64 0
		.amdhsa_float_denorm_mode_32 3
		.amdhsa_float_denorm_mode_16_64 3
		.amdhsa_dx10_clamp 1
		.amdhsa_ieee_mode 1
		.amdhsa_fp16_overflow 0
		.amdhsa_workgroup_processor_mode 1
		.amdhsa_memory_ordered 1
		.amdhsa_forward_progress 1
		.amdhsa_shared_vgpr_count 0
		.amdhsa_exception_fp_ieee_invalid_op 0
		.amdhsa_exception_fp_denorm_src 0
		.amdhsa_exception_fp_ieee_div_zero 0
		.amdhsa_exception_fp_ieee_overflow 0
		.amdhsa_exception_fp_ieee_underflow 0
		.amdhsa_exception_fp_ieee_inexact 0
		.amdhsa_exception_int_div_zero 0
	.end_amdhsa_kernel
	.section	.text._ZN2ck17naive_gemm_kernelINS_13tensor_layout4gemm8RowMajorENS2_11ColumnMajorES3_DF16_DF16_DF16_fNS_16tensor_operation12element_wise11PassThroughES7_S7_DF16_DF16_EEvPKT2_PKT3_PT4_iiiT6_T7_T8_,"axG",@progbits,_ZN2ck17naive_gemm_kernelINS_13tensor_layout4gemm8RowMajorENS2_11ColumnMajorES3_DF16_DF16_DF16_fNS_16tensor_operation12element_wise11PassThroughES7_S7_DF16_DF16_EEvPKT2_PKT3_PT4_iiiT6_T7_T8_,comdat
.Lfunc_end3:
	.size	_ZN2ck17naive_gemm_kernelINS_13tensor_layout4gemm8RowMajorENS2_11ColumnMajorES3_DF16_DF16_DF16_fNS_16tensor_operation12element_wise11PassThroughES7_S7_DF16_DF16_EEvPKT2_PKT3_PT4_iiiT6_T7_T8_, .Lfunc_end3-_ZN2ck17naive_gemm_kernelINS_13tensor_layout4gemm8RowMajorENS2_11ColumnMajorES3_DF16_DF16_DF16_fNS_16tensor_operation12element_wise11PassThroughES7_S7_DF16_DF16_EEvPKT2_PKT3_PT4_iiiT6_T7_T8_
                                        ; -- End function
	.set _ZN2ck17naive_gemm_kernelINS_13tensor_layout4gemm8RowMajorENS2_11ColumnMajorES3_DF16_DF16_DF16_fNS_16tensor_operation12element_wise11PassThroughES7_S7_DF16_DF16_EEvPKT2_PKT3_PT4_iiiT6_T7_T8_.num_vgpr, 9
	.set _ZN2ck17naive_gemm_kernelINS_13tensor_layout4gemm8RowMajorENS2_11ColumnMajorES3_DF16_DF16_DF16_fNS_16tensor_operation12element_wise11PassThroughES7_S7_DF16_DF16_EEvPKT2_PKT3_PT4_iiiT6_T7_T8_.num_agpr, 0
	.set _ZN2ck17naive_gemm_kernelINS_13tensor_layout4gemm8RowMajorENS2_11ColumnMajorES3_DF16_DF16_DF16_fNS_16tensor_operation12element_wise11PassThroughES7_S7_DF16_DF16_EEvPKT2_PKT3_PT4_iiiT6_T7_T8_.numbered_sgpr, 12
	.set _ZN2ck17naive_gemm_kernelINS_13tensor_layout4gemm8RowMajorENS2_11ColumnMajorES3_DF16_DF16_DF16_fNS_16tensor_operation12element_wise11PassThroughES7_S7_DF16_DF16_EEvPKT2_PKT3_PT4_iiiT6_T7_T8_.num_named_barrier, 0
	.set _ZN2ck17naive_gemm_kernelINS_13tensor_layout4gemm8RowMajorENS2_11ColumnMajorES3_DF16_DF16_DF16_fNS_16tensor_operation12element_wise11PassThroughES7_S7_DF16_DF16_EEvPKT2_PKT3_PT4_iiiT6_T7_T8_.private_seg_size, 0
	.set _ZN2ck17naive_gemm_kernelINS_13tensor_layout4gemm8RowMajorENS2_11ColumnMajorES3_DF16_DF16_DF16_fNS_16tensor_operation12element_wise11PassThroughES7_S7_DF16_DF16_EEvPKT2_PKT3_PT4_iiiT6_T7_T8_.uses_vcc, 1
	.set _ZN2ck17naive_gemm_kernelINS_13tensor_layout4gemm8RowMajorENS2_11ColumnMajorES3_DF16_DF16_DF16_fNS_16tensor_operation12element_wise11PassThroughES7_S7_DF16_DF16_EEvPKT2_PKT3_PT4_iiiT6_T7_T8_.uses_flat_scratch, 0
	.set _ZN2ck17naive_gemm_kernelINS_13tensor_layout4gemm8RowMajorENS2_11ColumnMajorES3_DF16_DF16_DF16_fNS_16tensor_operation12element_wise11PassThroughES7_S7_DF16_DF16_EEvPKT2_PKT3_PT4_iiiT6_T7_T8_.has_dyn_sized_stack, 0
	.set _ZN2ck17naive_gemm_kernelINS_13tensor_layout4gemm8RowMajorENS2_11ColumnMajorES3_DF16_DF16_DF16_fNS_16tensor_operation12element_wise11PassThroughES7_S7_DF16_DF16_EEvPKT2_PKT3_PT4_iiiT6_T7_T8_.has_recursion, 0
	.set _ZN2ck17naive_gemm_kernelINS_13tensor_layout4gemm8RowMajorENS2_11ColumnMajorES3_DF16_DF16_DF16_fNS_16tensor_operation12element_wise11PassThroughES7_S7_DF16_DF16_EEvPKT2_PKT3_PT4_iiiT6_T7_T8_.has_indirect_call, 0
	.section	.AMDGPU.csdata,"",@progbits
; Kernel info:
; codeLenInByte = 328
; TotalNumSgprs: 14
; NumVgprs: 9
; ScratchSize: 0
; MemoryBound: 0
; FloatMode: 240
; IeeeMode: 1
; LDSByteSize: 0 bytes/workgroup (compile time only)
; SGPRBlocks: 0
; VGPRBlocks: 1
; NumSGPRsForWavesPerEU: 14
; NumVGPRsForWavesPerEU: 9
; Occupancy: 16
; WaveLimiterHint : 0
; COMPUTE_PGM_RSRC2:SCRATCH_EN: 0
; COMPUTE_PGM_RSRC2:USER_SGPR: 6
; COMPUTE_PGM_RSRC2:TRAP_HANDLER: 0
; COMPUTE_PGM_RSRC2:TGID_X_EN: 1
; COMPUTE_PGM_RSRC2:TGID_Y_EN: 1
; COMPUTE_PGM_RSRC2:TGID_Z_EN: 0
; COMPUTE_PGM_RSRC2:TIDIG_COMP_CNT: 1
	.section	.AMDGPU.gpr_maximums,"",@progbits
	.set amdgpu.max_num_vgpr, 0
	.set amdgpu.max_num_agpr, 0
	.set amdgpu.max_num_sgpr, 0
	.section	.AMDGPU.csdata,"",@progbits
	.protected	_ZN2ck35GridwiseGemm_ak0mak1_bk0nbk1_mn_dppILi128EDF16_fDF16_LNS_25InMemoryDataOperationEnumE0ENS_13tensor_layout4gemm8RowMajorENS3_11ColumnMajorES4_NS_16tensor_operation12element_wise11PassThroughES8_S8_LNS6_6device18GemmSpecializationE4ELi64ELi64ELi64ELi32ELi8ELi8ELi2ELi2ELi2ENS_8SequenceIJLi4ELi32ELi1EEEENSB_IJLi1ELi0ELi2EEEESD_Li2ELi8ELi8ELb0ELb1ESC_SD_SD_Li2ELi2ELi2ELb0ELb1ENSB_IJLi0ELi2ELi4ELi1ELi3ELi5EEEELi5ELi1ELi1ELNS_15PipelineVersionE0EE13matrix_padderE ; @_ZN2ck35GridwiseGemm_ak0mak1_bk0nbk1_mn_dppILi128EDF16_fDF16_LNS_25InMemoryDataOperationEnumE0ENS_13tensor_layout4gemm8RowMajorENS3_11ColumnMajorES4_NS_16tensor_operation12element_wise11PassThroughES8_S8_LNS6_6device18GemmSpecializationE4ELi64ELi64ELi64ELi32ELi8ELi8ELi2ELi2ELi2ENS_8SequenceIJLi4ELi32ELi1EEEENSB_IJLi1ELi0ELi2EEEESD_Li2ELi8ELi8ELb0ELb1ESC_SD_SD_Li2ELi2ELi2ELb0ELb1ENSB_IJLi0ELi2ELi4ELi1ELi3ELi5EEEELi5ELi1ELi1ELNS_15PipelineVersionE0EE13matrix_padderE
	.type	_ZN2ck35GridwiseGemm_ak0mak1_bk0nbk1_mn_dppILi128EDF16_fDF16_LNS_25InMemoryDataOperationEnumE0ENS_13tensor_layout4gemm8RowMajorENS3_11ColumnMajorES4_NS_16tensor_operation12element_wise11PassThroughES8_S8_LNS6_6device18GemmSpecializationE4ELi64ELi64ELi64ELi32ELi8ELi8ELi2ELi2ELi2ENS_8SequenceIJLi4ELi32ELi1EEEENSB_IJLi1ELi0ELi2EEEESD_Li2ELi8ELi8ELb0ELb1ESC_SD_SD_Li2ELi2ELi2ELb0ELb1ENSB_IJLi0ELi2ELi4ELi1ELi3ELi5EEEELi5ELi1ELi1ELNS_15PipelineVersionE0EE13matrix_padderE,@object
	.section	.rodata._ZN2ck35GridwiseGemm_ak0mak1_bk0nbk1_mn_dppILi128EDF16_fDF16_LNS_25InMemoryDataOperationEnumE0ENS_13tensor_layout4gemm8RowMajorENS3_11ColumnMajorES4_NS_16tensor_operation12element_wise11PassThroughES8_S8_LNS6_6device18GemmSpecializationE4ELi64ELi64ELi64ELi32ELi8ELi8ELi2ELi2ELi2ENS_8SequenceIJLi4ELi32ELi1EEEENSB_IJLi1ELi0ELi2EEEESD_Li2ELi8ELi8ELb0ELb1ESC_SD_SD_Li2ELi2ELi2ELb0ELb1ENSB_IJLi0ELi2ELi4ELi1ELi3ELi5EEEELi5ELi1ELi1ELNS_15PipelineVersionE0EE13matrix_padderE,"aG",@progbits,_ZN2ck35GridwiseGemm_ak0mak1_bk0nbk1_mn_dppILi128EDF16_fDF16_LNS_25InMemoryDataOperationEnumE0ENS_13tensor_layout4gemm8RowMajorENS3_11ColumnMajorES4_NS_16tensor_operation12element_wise11PassThroughES8_S8_LNS6_6device18GemmSpecializationE4ELi64ELi64ELi64ELi32ELi8ELi8ELi2ELi2ELi2ENS_8SequenceIJLi4ELi32ELi1EEEENSB_IJLi1ELi0ELi2EEEESD_Li2ELi8ELi8ELb0ELb1ESC_SD_SD_Li2ELi2ELi2ELb0ELb1ENSB_IJLi0ELi2ELi4ELi1ELi3ELi5EEEELi5ELi1ELi1ELNS_15PipelineVersionE0EE13matrix_padderE,comdat
	.weak	_ZN2ck35GridwiseGemm_ak0mak1_bk0nbk1_mn_dppILi128EDF16_fDF16_LNS_25InMemoryDataOperationEnumE0ENS_13tensor_layout4gemm8RowMajorENS3_11ColumnMajorES4_NS_16tensor_operation12element_wise11PassThroughES8_S8_LNS6_6device18GemmSpecializationE4ELi64ELi64ELi64ELi32ELi8ELi8ELi2ELi2ELi2ENS_8SequenceIJLi4ELi32ELi1EEEENSB_IJLi1ELi0ELi2EEEESD_Li2ELi8ELi8ELb0ELb1ESC_SD_SD_Li2ELi2ELi2ELb0ELb1ENSB_IJLi0ELi2ELi4ELi1ELi3ELi5EEEELi5ELi1ELi1ELNS_15PipelineVersionE0EE13matrix_padderE
	.p2align	2, 0x0
_ZN2ck35GridwiseGemm_ak0mak1_bk0nbk1_mn_dppILi128EDF16_fDF16_LNS_25InMemoryDataOperationEnumE0ENS_13tensor_layout4gemm8RowMajorENS3_11ColumnMajorES4_NS_16tensor_operation12element_wise11PassThroughES8_S8_LNS6_6device18GemmSpecializationE4ELi64ELi64ELi64ELi32ELi8ELi8ELi2ELi2ELi2ENS_8SequenceIJLi4ELi32ELi1EEEENSB_IJLi1ELi0ELi2EEEESD_Li2ELi8ELi8ELb0ELb1ESC_SD_SD_Li2ELi2ELi2ELb0ELb1ENSB_IJLi0ELi2ELi4ELi1ELi3ELi5EEEELi5ELi1ELi1ELNS_15PipelineVersionE0EE13matrix_padderE:
	.long	64                              ; 0x40
	.long	64                              ; 0x40
	;; [unrolled: 1-line block ×3, first 2 shown]
	.size	_ZN2ck35GridwiseGemm_ak0mak1_bk0nbk1_mn_dppILi128EDF16_fDF16_LNS_25InMemoryDataOperationEnumE0ENS_13tensor_layout4gemm8RowMajorENS3_11ColumnMajorES4_NS_16tensor_operation12element_wise11PassThroughES8_S8_LNS6_6device18GemmSpecializationE4ELi64ELi64ELi64ELi32ELi8ELi8ELi2ELi2ELi2ENS_8SequenceIJLi4ELi32ELi1EEEENSB_IJLi1ELi0ELi2EEEESD_Li2ELi8ELi8ELb0ELb1ESC_SD_SD_Li2ELi2ELi2ELb0ELb1ENSB_IJLi0ELi2ELi4ELi1ELi3ELi5EEEELi5ELi1ELi1ELNS_15PipelineVersionE0EE13matrix_padderE, 12

	.protected	_ZN2ck45BlockwiseGemmDpp_ak0mak1_bk0nbk1_m0n0m1n1m2n2ILi128EDF16_fKNS_16TensorDescriptorINS_5TupleIJNS_5EmbedINS2_IJNS_17integral_constantIiLi8EEENS4_IiLi64EEES5_EEENS2_IJNS4_IiLi520EEES5_NS4_IiLi1EEEEEELb0EEEEEENS2_IJNS_8SequenceIJLi0EEEEEEENS2_IJNSD_IJLi1ELi2ELi3EEEEEEESG_NS4_IlLl4152EEEEEKNS1_INS2_IJNS3_INS2_IJNS4_IiLi32EEES6_NS4_IiLi2EEEEEENS2_IJNS4_IiLi130EEESM_S9_EEELb0EEEEEESF_SH_SG_NS4_IlLl4158EEEEELi32ELi8ELi2ELi2ELi8EE6MWavesE ; @_ZN2ck45BlockwiseGemmDpp_ak0mak1_bk0nbk1_m0n0m1n1m2n2ILi128EDF16_fKNS_16TensorDescriptorINS_5TupleIJNS_5EmbedINS2_IJNS_17integral_constantIiLi8EEENS4_IiLi64EEES5_EEENS2_IJNS4_IiLi520EEES5_NS4_IiLi1EEEEEELb0EEEEEENS2_IJNS_8SequenceIJLi0EEEEEEENS2_IJNSD_IJLi1ELi2ELi3EEEEEEESG_NS4_IlLl4152EEEEEKNS1_INS2_IJNS3_INS2_IJNS4_IiLi32EEES6_NS4_IiLi2EEEEEENS2_IJNS4_IiLi130EEESM_S9_EEELb0EEEEEESF_SH_SG_NS4_IlLl4158EEEEELi32ELi8ELi2ELi2ELi8EE6MWavesE
	.type	_ZN2ck45BlockwiseGemmDpp_ak0mak1_bk0nbk1_m0n0m1n1m2n2ILi128EDF16_fKNS_16TensorDescriptorINS_5TupleIJNS_5EmbedINS2_IJNS_17integral_constantIiLi8EEENS4_IiLi64EEES5_EEENS2_IJNS4_IiLi520EEES5_NS4_IiLi1EEEEEELb0EEEEEENS2_IJNS_8SequenceIJLi0EEEEEEENS2_IJNSD_IJLi1ELi2ELi3EEEEEEESG_NS4_IlLl4152EEEEEKNS1_INS2_IJNS3_INS2_IJNS4_IiLi32EEES6_NS4_IiLi2EEEEEENS2_IJNS4_IiLi130EEESM_S9_EEELb0EEEEEESF_SH_SG_NS4_IlLl4158EEEEELi32ELi8ELi2ELi2ELi8EE6MWavesE,@object
	.section	.rodata._ZN2ck45BlockwiseGemmDpp_ak0mak1_bk0nbk1_m0n0m1n1m2n2ILi128EDF16_fKNS_16TensorDescriptorINS_5TupleIJNS_5EmbedINS2_IJNS_17integral_constantIiLi8EEENS4_IiLi64EEES5_EEENS2_IJNS4_IiLi520EEES5_NS4_IiLi1EEEEEELb0EEEEEENS2_IJNS_8SequenceIJLi0EEEEEEENS2_IJNSD_IJLi1ELi2ELi3EEEEEEESG_NS4_IlLl4152EEEEEKNS1_INS2_IJNS3_INS2_IJNS4_IiLi32EEES6_NS4_IiLi2EEEEEENS2_IJNS4_IiLi130EEESM_S9_EEELb0EEEEEESF_SH_SG_NS4_IlLl4158EEEEELi32ELi8ELi2ELi2ELi8EE6MWavesE,"aG",@progbits,_ZN2ck45BlockwiseGemmDpp_ak0mak1_bk0nbk1_m0n0m1n1m2n2ILi128EDF16_fKNS_16TensorDescriptorINS_5TupleIJNS_5EmbedINS2_IJNS_17integral_constantIiLi8EEENS4_IiLi64EEES5_EEENS2_IJNS4_IiLi520EEES5_NS4_IiLi1EEEEEELb0EEEEEENS2_IJNS_8SequenceIJLi0EEEEEEENS2_IJNSD_IJLi1ELi2ELi3EEEEEEESG_NS4_IlLl4152EEEEEKNS1_INS2_IJNS3_INS2_IJNS4_IiLi32EEES6_NS4_IiLi2EEEEEENS2_IJNS4_IiLi130EEESM_S9_EEELb0EEEEEESF_SH_SG_NS4_IlLl4158EEEEELi32ELi8ELi2ELi2ELi8EE6MWavesE,comdat
	.weak	_ZN2ck45BlockwiseGemmDpp_ak0mak1_bk0nbk1_m0n0m1n1m2n2ILi128EDF16_fKNS_16TensorDescriptorINS_5TupleIJNS_5EmbedINS2_IJNS_17integral_constantIiLi8EEENS4_IiLi64EEES5_EEENS2_IJNS4_IiLi520EEES5_NS4_IiLi1EEEEEELb0EEEEEENS2_IJNS_8SequenceIJLi0EEEEEEENS2_IJNSD_IJLi1ELi2ELi3EEEEEEESG_NS4_IlLl4152EEEEEKNS1_INS2_IJNS3_INS2_IJNS4_IiLi32EEES6_NS4_IiLi2EEEEEENS2_IJNS4_IiLi130EEESM_S9_EEELb0EEEEEESF_SH_SG_NS4_IlLl4158EEEEELi32ELi8ELi2ELi2ELi8EE6MWavesE
	.p2align	2, 0x0
_ZN2ck45BlockwiseGemmDpp_ak0mak1_bk0nbk1_m0n0m1n1m2n2ILi128EDF16_fKNS_16TensorDescriptorINS_5TupleIJNS_5EmbedINS2_IJNS_17integral_constantIiLi8EEENS4_IiLi64EEES5_EEENS2_IJNS4_IiLi520EEES5_NS4_IiLi1EEEEEELb0EEEEEENS2_IJNS_8SequenceIJLi0EEEEEEENS2_IJNSD_IJLi1ELi2ELi3EEEEEEESG_NS4_IlLl4152EEEEEKNS1_INS2_IJNS3_INS2_IJNS4_IiLi32EEES6_NS4_IiLi2EEEEEENS2_IJNS4_IiLi130EEESM_S9_EEELb0EEEEEESF_SH_SG_NS4_IlLl4158EEEEELi32ELi8ELi2ELi2ELi8EE6MWavesE:
	.long	1                               ; 0x1
	.size	_ZN2ck45BlockwiseGemmDpp_ak0mak1_bk0nbk1_m0n0m1n1m2n2ILi128EDF16_fKNS_16TensorDescriptorINS_5TupleIJNS_5EmbedINS2_IJNS_17integral_constantIiLi8EEENS4_IiLi64EEES5_EEENS2_IJNS4_IiLi520EEES5_NS4_IiLi1EEEEEELb0EEEEEENS2_IJNS_8SequenceIJLi0EEEEEEENS2_IJNSD_IJLi1ELi2ELi3EEEEEEESG_NS4_IlLl4152EEEEEKNS1_INS2_IJNS3_INS2_IJNS4_IiLi32EEES6_NS4_IiLi2EEEEEENS2_IJNS4_IiLi130EEESM_S9_EEELb0EEEEEESF_SH_SG_NS4_IlLl4158EEEEELi32ELi8ELi2ELi2ELi8EE6MWavesE, 4

	.protected	_ZN2ck45BlockwiseGemmDpp_ak0mak1_bk0nbk1_m0n0m1n1m2n2ILi128EDF16_fKNS_16TensorDescriptorINS_5TupleIJNS_5EmbedINS2_IJNS_17integral_constantIiLi8EEENS4_IiLi64EEES5_EEENS2_IJNS4_IiLi520EEES5_NS4_IiLi1EEEEEELb0EEEEEENS2_IJNS_8SequenceIJLi0EEEEEEENS2_IJNSD_IJLi1ELi2ELi3EEEEEEESG_NS4_IlLl4152EEEEEKNS1_INS2_IJNS3_INS2_IJNS4_IiLi32EEES6_NS4_IiLi2EEEEEENS2_IJNS4_IiLi130EEESM_S9_EEELb0EEEEEESF_SH_SG_NS4_IlLl4158EEEEELi32ELi8ELi2ELi2ELi8EE6NWavesE ; @_ZN2ck45BlockwiseGemmDpp_ak0mak1_bk0nbk1_m0n0m1n1m2n2ILi128EDF16_fKNS_16TensorDescriptorINS_5TupleIJNS_5EmbedINS2_IJNS_17integral_constantIiLi8EEENS4_IiLi64EEES5_EEENS2_IJNS4_IiLi520EEES5_NS4_IiLi1EEEEEELb0EEEEEENS2_IJNS_8SequenceIJLi0EEEEEEENS2_IJNSD_IJLi1ELi2ELi3EEEEEEESG_NS4_IlLl4152EEEEEKNS1_INS2_IJNS3_INS2_IJNS4_IiLi32EEES6_NS4_IiLi2EEEEEENS2_IJNS4_IiLi130EEESM_S9_EEELb0EEEEEESF_SH_SG_NS4_IlLl4158EEEEELi32ELi8ELi2ELi2ELi8EE6NWavesE
	.type	_ZN2ck45BlockwiseGemmDpp_ak0mak1_bk0nbk1_m0n0m1n1m2n2ILi128EDF16_fKNS_16TensorDescriptorINS_5TupleIJNS_5EmbedINS2_IJNS_17integral_constantIiLi8EEENS4_IiLi64EEES5_EEENS2_IJNS4_IiLi520EEES5_NS4_IiLi1EEEEEELb0EEEEEENS2_IJNS_8SequenceIJLi0EEEEEEENS2_IJNSD_IJLi1ELi2ELi3EEEEEEESG_NS4_IlLl4152EEEEEKNS1_INS2_IJNS3_INS2_IJNS4_IiLi32EEES6_NS4_IiLi2EEEEEENS2_IJNS4_IiLi130EEESM_S9_EEELb0EEEEEESF_SH_SG_NS4_IlLl4158EEEEELi32ELi8ELi2ELi2ELi8EE6NWavesE,@object
	.section	.rodata._ZN2ck45BlockwiseGemmDpp_ak0mak1_bk0nbk1_m0n0m1n1m2n2ILi128EDF16_fKNS_16TensorDescriptorINS_5TupleIJNS_5EmbedINS2_IJNS_17integral_constantIiLi8EEENS4_IiLi64EEES5_EEENS2_IJNS4_IiLi520EEES5_NS4_IiLi1EEEEEELb0EEEEEENS2_IJNS_8SequenceIJLi0EEEEEEENS2_IJNSD_IJLi1ELi2ELi3EEEEEEESG_NS4_IlLl4152EEEEEKNS1_INS2_IJNS3_INS2_IJNS4_IiLi32EEES6_NS4_IiLi2EEEEEENS2_IJNS4_IiLi130EEESM_S9_EEELb0EEEEEESF_SH_SG_NS4_IlLl4158EEEEELi32ELi8ELi2ELi2ELi8EE6NWavesE,"aG",@progbits,_ZN2ck45BlockwiseGemmDpp_ak0mak1_bk0nbk1_m0n0m1n1m2n2ILi128EDF16_fKNS_16TensorDescriptorINS_5TupleIJNS_5EmbedINS2_IJNS_17integral_constantIiLi8EEENS4_IiLi64EEES5_EEENS2_IJNS4_IiLi520EEES5_NS4_IiLi1EEEEEELb0EEEEEENS2_IJNS_8SequenceIJLi0EEEEEEENS2_IJNSD_IJLi1ELi2ELi3EEEEEEESG_NS4_IlLl4152EEEEEKNS1_INS2_IJNS3_INS2_IJNS4_IiLi32EEES6_NS4_IiLi2EEEEEENS2_IJNS4_IiLi130EEESM_S9_EEELb0EEEEEESF_SH_SG_NS4_IlLl4158EEEEELi32ELi8ELi2ELi2ELi8EE6NWavesE,comdat
	.weak	_ZN2ck45BlockwiseGemmDpp_ak0mak1_bk0nbk1_m0n0m1n1m2n2ILi128EDF16_fKNS_16TensorDescriptorINS_5TupleIJNS_5EmbedINS2_IJNS_17integral_constantIiLi8EEENS4_IiLi64EEES5_EEENS2_IJNS4_IiLi520EEES5_NS4_IiLi1EEEEEELb0EEEEEENS2_IJNS_8SequenceIJLi0EEEEEEENS2_IJNSD_IJLi1ELi2ELi3EEEEEEESG_NS4_IlLl4152EEEEEKNS1_INS2_IJNS3_INS2_IJNS4_IiLi32EEES6_NS4_IiLi2EEEEEENS2_IJNS4_IiLi130EEESM_S9_EEELb0EEEEEESF_SH_SG_NS4_IlLl4158EEEEELi32ELi8ELi2ELi2ELi8EE6NWavesE
	.p2align	2, 0x0
_ZN2ck45BlockwiseGemmDpp_ak0mak1_bk0nbk1_m0n0m1n1m2n2ILi128EDF16_fKNS_16TensorDescriptorINS_5TupleIJNS_5EmbedINS2_IJNS_17integral_constantIiLi8EEENS4_IiLi64EEES5_EEENS2_IJNS4_IiLi520EEES5_NS4_IiLi1EEEEEELb0EEEEEENS2_IJNS_8SequenceIJLi0EEEEEEENS2_IJNSD_IJLi1ELi2ELi3EEEEEEESG_NS4_IlLl4152EEEEEKNS1_INS2_IJNS3_INS2_IJNS4_IiLi32EEES6_NS4_IiLi2EEEEEENS2_IJNS4_IiLi130EEESM_S9_EEELb0EEEEEESF_SH_SG_NS4_IlLl4158EEEEELi32ELi8ELi2ELi2ELi8EE6NWavesE:
	.long	4                               ; 0x4
	.size	_ZN2ck45BlockwiseGemmDpp_ak0mak1_bk0nbk1_m0n0m1n1m2n2ILi128EDF16_fKNS_16TensorDescriptorINS_5TupleIJNS_5EmbedINS2_IJNS_17integral_constantIiLi8EEENS4_IiLi64EEES5_EEENS2_IJNS4_IiLi520EEES5_NS4_IiLi1EEEEEELb0EEEEEENS2_IJNS_8SequenceIJLi0EEEEEEENS2_IJNSD_IJLi1ELi2ELi3EEEEEEESG_NS4_IlLl4152EEEEEKNS1_INS2_IJNS3_INS2_IJNS4_IiLi32EEES6_NS4_IiLi2EEEEEENS2_IJNS4_IiLi130EEESM_S9_EEELb0EEEEEESF_SH_SG_NS4_IlLl4158EEEEELi32ELi8ELi2ELi2ELi8EE6NWavesE, 4

	.type	__hip_cuid_8b0a083b9e069e29,@object ; @__hip_cuid_8b0a083b9e069e29
	.section	.bss,"aw",@nobits
	.globl	__hip_cuid_8b0a083b9e069e29
__hip_cuid_8b0a083b9e069e29:
	.byte	0                               ; 0x0
	.size	__hip_cuid_8b0a083b9e069e29, 1

	.ident	"AMD clang version 22.0.0git (https://github.com/RadeonOpenCompute/llvm-project roc-7.2.4 26084 f58b06dce1f9c15707c5f808fd002e18c2accf7e)"
	.section	".note.GNU-stack","",@progbits
	.addrsig
	.addrsig_sym __hip_cuid_8b0a083b9e069e29
	.amdgpu_metadata
---
amdhsa.kernels:
  - .args:           []
    .group_segment_fixed_size: 0
    .kernarg_segment_align: 4
    .kernarg_segment_size: 0
    .language:       OpenCL C
    .language_version:
      - 2
      - 0
    .max_flat_workgroup_size: 1024
    .name:           _ZN2ckL12flush_icacheEv
    .private_segment_fixed_size: 0
    .sgpr_count:     0
    .sgpr_spill_count: 0
    .symbol:         _ZN2ckL12flush_icacheEv.kd
    .uniform_work_group_size: 1
    .uses_dynamic_stack: false
    .vgpr_count:     0
    .vgpr_spill_count: 0
    .wavefront_size: 32
    .workgroup_processor_mode: 1
  - .args:
      - .offset:         0
        .size:           80
        .value_kind:     by_value
    .group_segment_fixed_size: 16624
    .kernarg_segment_align: 8
    .kernarg_segment_size: 80
    .language:       OpenCL C
    .language_version:
      - 2
      - 0
    .max_flat_workgroup_size: 256
    .name:           _ZN2ck15kernel_gemm_dppINS_35GridwiseGemm_ak0mak1_bk0nbk1_mn_dppILi128EDF16_fDF16_LNS_25InMemoryDataOperationEnumE0ENS_13tensor_layout4gemm8RowMajorENS4_11ColumnMajorES5_NS_16tensor_operation12element_wise11PassThroughES9_S9_LNS7_6device18GemmSpecializationE4ELi64ELi64ELi64ELi32ELi8ELi8ELi2ELi2ELi2ENS_8SequenceIJLi4ELi32ELi1EEEENSC_IJLi1ELi0ELi2EEEESE_Li2ELi8ELi8ELb0ELb1ESD_SE_SE_Li2ELi2ELi2ELb0ELb1ENSC_IJLi0ELi2ELi4ELi1ELi3ELi5EEEELi5ELi1ELi1ELNS_15PipelineVersionE0EEELb1EEEvNT_8ArgumentE
    .private_segment_fixed_size: 0
    .sgpr_count:     34
    .sgpr_spill_count: 0
    .symbol:         _ZN2ck15kernel_gemm_dppINS_35GridwiseGemm_ak0mak1_bk0nbk1_mn_dppILi128EDF16_fDF16_LNS_25InMemoryDataOperationEnumE0ENS_13tensor_layout4gemm8RowMajorENS4_11ColumnMajorES5_NS_16tensor_operation12element_wise11PassThroughES9_S9_LNS7_6device18GemmSpecializationE4ELi64ELi64ELi64ELi32ELi8ELi8ELi2ELi2ELi2ENS_8SequenceIJLi4ELi32ELi1EEEENSC_IJLi1ELi0ELi2EEEESE_Li2ELi8ELi8ELb0ELb1ESD_SE_SE_Li2ELi2ELi2ELb0ELb1ENSC_IJLi0ELi2ELi4ELi1ELi3ELi5EEEELi5ELi1ELi1ELNS_15PipelineVersionE0EEELb1EEEvNT_8ArgumentE.kd
    .uniform_work_group_size: 1
    .uses_dynamic_stack: false
    .vgpr_count:     159
    .vgpr_spill_count: 0
    .wavefront_size: 32
    .workgroup_processor_mode: 1
  - .args:
      - .offset:         0
        .size:           80
        .value_kind:     by_value
    .group_segment_fixed_size: 16624
    .kernarg_segment_align: 8
    .kernarg_segment_size: 80
    .language:       OpenCL C
    .language_version:
      - 2
      - 0
    .max_flat_workgroup_size: 256
    .name:           _ZN2ck15kernel_gemm_dppINS_35GridwiseGemm_ak0mak1_bk0nbk1_mn_dppILi128EDF16_fDF16_LNS_25InMemoryDataOperationEnumE0ENS_13tensor_layout4gemm8RowMajorENS4_11ColumnMajorES5_NS_16tensor_operation12element_wise11PassThroughES9_S9_LNS7_6device18GemmSpecializationE4ELi64ELi64ELi64ELi32ELi8ELi8ELi2ELi2ELi2ENS_8SequenceIJLi4ELi32ELi1EEEENSC_IJLi1ELi0ELi2EEEESE_Li2ELi8ELi8ELb0ELb1ESD_SE_SE_Li2ELi2ELi2ELb0ELb1ENSC_IJLi0ELi2ELi4ELi1ELi3ELi5EEEELi5ELi1ELi1ELNS_15PipelineVersionE0EEELb0EEEvNT_8ArgumentE
    .private_segment_fixed_size: 0
    .sgpr_count:     23
    .sgpr_spill_count: 0
    .symbol:         _ZN2ck15kernel_gemm_dppINS_35GridwiseGemm_ak0mak1_bk0nbk1_mn_dppILi128EDF16_fDF16_LNS_25InMemoryDataOperationEnumE0ENS_13tensor_layout4gemm8RowMajorENS4_11ColumnMajorES5_NS_16tensor_operation12element_wise11PassThroughES9_S9_LNS7_6device18GemmSpecializationE4ELi64ELi64ELi64ELi32ELi8ELi8ELi2ELi2ELi2ENS_8SequenceIJLi4ELi32ELi1EEEENSC_IJLi1ELi0ELi2EEEESE_Li2ELi8ELi8ELb0ELb1ESD_SE_SE_Li2ELi2ELi2ELb0ELb1ENSC_IJLi0ELi2ELi4ELi1ELi3ELi5EEEELi5ELi1ELi1ELNS_15PipelineVersionE0EEELb0EEEvNT_8ArgumentE.kd
    .uniform_work_group_size: 1
    .uses_dynamic_stack: false
    .vgpr_count:     107
    .vgpr_spill_count: 0
    .wavefront_size: 32
    .workgroup_processor_mode: 1
  - .args:
      - .actual_access:  read_only
        .address_space:  global
        .offset:         0
        .size:           8
        .value_kind:     global_buffer
      - .actual_access:  read_only
        .address_space:  global
        .offset:         8
        .size:           8
        .value_kind:     global_buffer
      - .actual_access:  write_only
        .address_space:  global
        .offset:         16
        .size:           8
        .value_kind:     global_buffer
      - .offset:         24
        .size:           4
        .value_kind:     by_value
      - .offset:         28
        .size:           4
        .value_kind:     by_value
      - .offset:         32
        .size:           4
        .value_kind:     by_value
      - .offset:         36
        .size:           1
        .value_kind:     by_value
      - .offset:         37
        .size:           1
        .value_kind:     by_value
      - .offset:         38
        .size:           1
        .value_kind:     by_value
      - .offset:         40
        .size:           4
        .value_kind:     hidden_block_count_x
      - .offset:         44
        .size:           4
        .value_kind:     hidden_block_count_y
      - .offset:         48
        .size:           4
        .value_kind:     hidden_block_count_z
      - .offset:         52
        .size:           2
        .value_kind:     hidden_group_size_x
      - .offset:         54
        .size:           2
        .value_kind:     hidden_group_size_y
      - .offset:         56
        .size:           2
        .value_kind:     hidden_group_size_z
      - .offset:         58
        .size:           2
        .value_kind:     hidden_remainder_x
      - .offset:         60
        .size:           2
        .value_kind:     hidden_remainder_y
      - .offset:         62
        .size:           2
        .value_kind:     hidden_remainder_z
      - .offset:         80
        .size:           8
        .value_kind:     hidden_global_offset_x
      - .offset:         88
        .size:           8
        .value_kind:     hidden_global_offset_y
      - .offset:         96
        .size:           8
        .value_kind:     hidden_global_offset_z
      - .offset:         104
        .size:           2
        .value_kind:     hidden_grid_dims
    .group_segment_fixed_size: 0
    .kernarg_segment_align: 8
    .kernarg_segment_size: 296
    .language:       OpenCL C
    .language_version:
      - 2
      - 0
    .max_flat_workgroup_size: 256
    .name:           _ZN2ck17naive_gemm_kernelINS_13tensor_layout4gemm8RowMajorENS2_11ColumnMajorES3_DF16_DF16_DF16_fNS_16tensor_operation12element_wise11PassThroughES7_S7_DF16_DF16_EEvPKT2_PKT3_PT4_iiiT6_T7_T8_
    .private_segment_fixed_size: 0
    .sgpr_count:     14
    .sgpr_spill_count: 0
    .symbol:         _ZN2ck17naive_gemm_kernelINS_13tensor_layout4gemm8RowMajorENS2_11ColumnMajorES3_DF16_DF16_DF16_fNS_16tensor_operation12element_wise11PassThroughES7_S7_DF16_DF16_EEvPKT2_PKT3_PT4_iiiT6_T7_T8_.kd
    .uniform_work_group_size: 1
    .uses_dynamic_stack: false
    .vgpr_count:     9
    .vgpr_spill_count: 0
    .wavefront_size: 32
    .workgroup_processor_mode: 1
amdhsa.target:   amdgcn-amd-amdhsa--gfx1030
amdhsa.version:
  - 1
  - 2
...

	.end_amdgpu_metadata
